;; amdgpu-corpus repo=ROCm/rocFFT kind=compiled arch=gfx1030 opt=O3
	.text
	.amdgcn_target "amdgcn-amd-amdhsa--gfx1030"
	.amdhsa_code_object_version 6
	.protected	fft_rtc_back_len676_factors_13_13_4_wgs_52_tpt_52_dp_ip_CI_unitstride_sbrr_C2R_dirReg ; -- Begin function fft_rtc_back_len676_factors_13_13_4_wgs_52_tpt_52_dp_ip_CI_unitstride_sbrr_C2R_dirReg
	.globl	fft_rtc_back_len676_factors_13_13_4_wgs_52_tpt_52_dp_ip_CI_unitstride_sbrr_C2R_dirReg
	.p2align	8
	.type	fft_rtc_back_len676_factors_13_13_4_wgs_52_tpt_52_dp_ip_CI_unitstride_sbrr_C2R_dirReg,@function
fft_rtc_back_len676_factors_13_13_4_wgs_52_tpt_52_dp_ip_CI_unitstride_sbrr_C2R_dirReg: ; @fft_rtc_back_len676_factors_13_13_4_wgs_52_tpt_52_dp_ip_CI_unitstride_sbrr_C2R_dirReg
; %bb.0:
	s_clause 0x2
	s_load_dwordx4 s[8:11], s[4:5], 0x0
	s_load_dwordx2 s[2:3], s[4:5], 0x50
	s_load_dwordx2 s[12:13], s[4:5], 0x18
	v_mul_u32_u24_e32 v1, 0x4ed, v0
	v_mov_b32_e32 v3, 0
	v_add_nc_u32_sdwa v5, s6, v1 dst_sel:DWORD dst_unused:UNUSED_PAD src0_sel:DWORD src1_sel:WORD_1
	v_mov_b32_e32 v1, 0
	v_mov_b32_e32 v6, v3
	v_mov_b32_e32 v2, 0
	s_waitcnt lgkmcnt(0)
	v_cmp_lt_u64_e64 s0, s[10:11], 2
	s_and_b32 vcc_lo, exec_lo, s0
	s_cbranch_vccnz .LBB0_8
; %bb.1:
	s_load_dwordx2 s[0:1], s[4:5], 0x10
	v_mov_b32_e32 v1, 0
	s_add_u32 s6, s12, 8
	v_mov_b32_e32 v2, 0
	s_addc_u32 s7, s13, 0
	s_mov_b64 s[16:17], 1
	s_waitcnt lgkmcnt(0)
	s_add_u32 s14, s0, 8
	s_addc_u32 s15, s1, 0
.LBB0_2:                                ; =>This Inner Loop Header: Depth=1
	s_load_dwordx2 s[18:19], s[14:15], 0x0
                                        ; implicit-def: $vgpr7_vgpr8
	s_mov_b32 s0, exec_lo
	s_waitcnt lgkmcnt(0)
	v_or_b32_e32 v4, s19, v6
	v_cmpx_ne_u64_e32 0, v[3:4]
	s_xor_b32 s1, exec_lo, s0
	s_cbranch_execz .LBB0_4
; %bb.3:                                ;   in Loop: Header=BB0_2 Depth=1
	v_cvt_f32_u32_e32 v4, s18
	v_cvt_f32_u32_e32 v7, s19
	s_sub_u32 s0, 0, s18
	s_subb_u32 s20, 0, s19
	v_fmac_f32_e32 v4, 0x4f800000, v7
	v_rcp_f32_e32 v4, v4
	v_mul_f32_e32 v4, 0x5f7ffffc, v4
	v_mul_f32_e32 v7, 0x2f800000, v4
	v_trunc_f32_e32 v7, v7
	v_fmac_f32_e32 v4, 0xcf800000, v7
	v_cvt_u32_f32_e32 v7, v7
	v_cvt_u32_f32_e32 v4, v4
	v_mul_lo_u32 v8, s0, v7
	v_mul_hi_u32 v9, s0, v4
	v_mul_lo_u32 v10, s20, v4
	v_add_nc_u32_e32 v8, v9, v8
	v_mul_lo_u32 v9, s0, v4
	v_add_nc_u32_e32 v8, v8, v10
	v_mul_hi_u32 v10, v4, v9
	v_mul_lo_u32 v11, v4, v8
	v_mul_hi_u32 v12, v4, v8
	v_mul_hi_u32 v13, v7, v9
	v_mul_lo_u32 v9, v7, v9
	v_mul_hi_u32 v14, v7, v8
	v_mul_lo_u32 v8, v7, v8
	v_add_co_u32 v10, vcc_lo, v10, v11
	v_add_co_ci_u32_e32 v11, vcc_lo, 0, v12, vcc_lo
	v_add_co_u32 v9, vcc_lo, v10, v9
	v_add_co_ci_u32_e32 v9, vcc_lo, v11, v13, vcc_lo
	v_add_co_ci_u32_e32 v10, vcc_lo, 0, v14, vcc_lo
	v_add_co_u32 v8, vcc_lo, v9, v8
	v_add_co_ci_u32_e32 v9, vcc_lo, 0, v10, vcc_lo
	v_add_co_u32 v4, vcc_lo, v4, v8
	v_add_co_ci_u32_e32 v7, vcc_lo, v7, v9, vcc_lo
	v_mul_hi_u32 v8, s0, v4
	v_mul_lo_u32 v10, s20, v4
	v_mul_lo_u32 v9, s0, v7
	v_add_nc_u32_e32 v8, v8, v9
	v_mul_lo_u32 v9, s0, v4
	v_add_nc_u32_e32 v8, v8, v10
	v_mul_hi_u32 v10, v4, v9
	v_mul_lo_u32 v11, v4, v8
	v_mul_hi_u32 v12, v4, v8
	v_mul_hi_u32 v13, v7, v9
	v_mul_lo_u32 v9, v7, v9
	v_mul_hi_u32 v14, v7, v8
	v_mul_lo_u32 v8, v7, v8
	v_add_co_u32 v10, vcc_lo, v10, v11
	v_add_co_ci_u32_e32 v11, vcc_lo, 0, v12, vcc_lo
	v_add_co_u32 v9, vcc_lo, v10, v9
	v_add_co_ci_u32_e32 v9, vcc_lo, v11, v13, vcc_lo
	v_add_co_ci_u32_e32 v10, vcc_lo, 0, v14, vcc_lo
	v_add_co_u32 v8, vcc_lo, v9, v8
	v_add_co_ci_u32_e32 v9, vcc_lo, 0, v10, vcc_lo
	v_add_co_u32 v4, vcc_lo, v4, v8
	v_add_co_ci_u32_e32 v11, vcc_lo, v7, v9, vcc_lo
	v_mul_hi_u32 v13, v5, v4
	v_mad_u64_u32 v[9:10], null, v6, v4, 0
	v_mad_u64_u32 v[7:8], null, v5, v11, 0
	;; [unrolled: 1-line block ×3, first 2 shown]
	v_add_co_u32 v4, vcc_lo, v13, v7
	v_add_co_ci_u32_e32 v7, vcc_lo, 0, v8, vcc_lo
	v_add_co_u32 v4, vcc_lo, v4, v9
	v_add_co_ci_u32_e32 v4, vcc_lo, v7, v10, vcc_lo
	v_add_co_ci_u32_e32 v7, vcc_lo, 0, v12, vcc_lo
	v_add_co_u32 v4, vcc_lo, v4, v11
	v_add_co_ci_u32_e32 v9, vcc_lo, 0, v7, vcc_lo
	v_mul_lo_u32 v10, s19, v4
	v_mad_u64_u32 v[7:8], null, s18, v4, 0
	v_mul_lo_u32 v11, s18, v9
	v_sub_co_u32 v7, vcc_lo, v5, v7
	v_add3_u32 v8, v8, v11, v10
	v_sub_nc_u32_e32 v10, v6, v8
	v_subrev_co_ci_u32_e64 v10, s0, s19, v10, vcc_lo
	v_add_co_u32 v11, s0, v4, 2
	v_add_co_ci_u32_e64 v12, s0, 0, v9, s0
	v_sub_co_u32 v13, s0, v7, s18
	v_sub_co_ci_u32_e32 v8, vcc_lo, v6, v8, vcc_lo
	v_subrev_co_ci_u32_e64 v10, s0, 0, v10, s0
	v_cmp_le_u32_e32 vcc_lo, s18, v13
	v_cmp_eq_u32_e64 s0, s19, v8
	v_cndmask_b32_e64 v13, 0, -1, vcc_lo
	v_cmp_le_u32_e32 vcc_lo, s19, v10
	v_cndmask_b32_e64 v14, 0, -1, vcc_lo
	v_cmp_le_u32_e32 vcc_lo, s18, v7
	;; [unrolled: 2-line block ×3, first 2 shown]
	v_cndmask_b32_e64 v15, 0, -1, vcc_lo
	v_cmp_eq_u32_e32 vcc_lo, s19, v10
	v_cndmask_b32_e64 v7, v15, v7, s0
	v_cndmask_b32_e32 v10, v14, v13, vcc_lo
	v_add_co_u32 v13, vcc_lo, v4, 1
	v_add_co_ci_u32_e32 v14, vcc_lo, 0, v9, vcc_lo
	v_cmp_ne_u32_e32 vcc_lo, 0, v10
	v_cndmask_b32_e32 v8, v14, v12, vcc_lo
	v_cndmask_b32_e32 v10, v13, v11, vcc_lo
	v_cmp_ne_u32_e32 vcc_lo, 0, v7
	v_cndmask_b32_e32 v8, v9, v8, vcc_lo
	v_cndmask_b32_e32 v7, v4, v10, vcc_lo
.LBB0_4:                                ;   in Loop: Header=BB0_2 Depth=1
	s_andn2_saveexec_b32 s0, s1
	s_cbranch_execz .LBB0_6
; %bb.5:                                ;   in Loop: Header=BB0_2 Depth=1
	v_cvt_f32_u32_e32 v4, s18
	s_sub_i32 s1, 0, s18
	v_rcp_iflag_f32_e32 v4, v4
	v_mul_f32_e32 v4, 0x4f7ffffe, v4
	v_cvt_u32_f32_e32 v4, v4
	v_mul_lo_u32 v7, s1, v4
	v_mul_hi_u32 v7, v4, v7
	v_add_nc_u32_e32 v4, v4, v7
	v_mul_hi_u32 v4, v5, v4
	v_mul_lo_u32 v7, v4, s18
	v_add_nc_u32_e32 v8, 1, v4
	v_sub_nc_u32_e32 v7, v5, v7
	v_subrev_nc_u32_e32 v9, s18, v7
	v_cmp_le_u32_e32 vcc_lo, s18, v7
	v_cndmask_b32_e32 v7, v7, v9, vcc_lo
	v_cndmask_b32_e32 v4, v4, v8, vcc_lo
	v_cmp_le_u32_e32 vcc_lo, s18, v7
	v_add_nc_u32_e32 v8, 1, v4
	v_cndmask_b32_e32 v7, v4, v8, vcc_lo
	v_mov_b32_e32 v8, v3
.LBB0_6:                                ;   in Loop: Header=BB0_2 Depth=1
	s_or_b32 exec_lo, exec_lo, s0
	s_load_dwordx2 s[0:1], s[6:7], 0x0
	v_mul_lo_u32 v4, v8, s18
	v_mul_lo_u32 v11, v7, s19
	v_mad_u64_u32 v[9:10], null, v7, s18, 0
	s_add_u32 s16, s16, 1
	s_addc_u32 s17, s17, 0
	s_add_u32 s6, s6, 8
	s_addc_u32 s7, s7, 0
	;; [unrolled: 2-line block ×3, first 2 shown]
	v_add3_u32 v4, v10, v11, v4
	v_sub_co_u32 v5, vcc_lo, v5, v9
	v_sub_co_ci_u32_e32 v4, vcc_lo, v6, v4, vcc_lo
	s_waitcnt lgkmcnt(0)
	v_mul_lo_u32 v6, s1, v5
	v_mul_lo_u32 v4, s0, v4
	v_mad_u64_u32 v[1:2], null, s0, v5, v[1:2]
	v_cmp_ge_u64_e64 s0, s[16:17], s[10:11]
	s_and_b32 vcc_lo, exec_lo, s0
	v_add3_u32 v2, v6, v2, v4
	s_cbranch_vccnz .LBB0_9
; %bb.7:                                ;   in Loop: Header=BB0_2 Depth=1
	v_mov_b32_e32 v5, v7
	v_mov_b32_e32 v6, v8
	s_branch .LBB0_2
.LBB0_8:
	v_mov_b32_e32 v8, v6
	v_mov_b32_e32 v7, v5
.LBB0_9:
	s_lshl_b64 s[0:1], s[10:11], 3
	v_mul_hi_u32 v5, 0x4ec4ec5, v0
	s_add_u32 s0, s12, s0
	s_addc_u32 s1, s13, s1
	s_load_dwordx2 s[0:1], s[0:1], 0x0
	s_load_dwordx2 s[4:5], s[4:5], 0x20
	s_waitcnt lgkmcnt(0)
	v_mul_lo_u32 v3, s0, v8
	v_mul_lo_u32 v4, s1, v7
	v_mad_u64_u32 v[1:2], null, s0, v7, v[1:2]
	v_cmp_gt_u64_e32 vcc_lo, s[4:5], v[7:8]
	v_add3_u32 v2, v4, v2, v3
	v_mul_u32_u24_e32 v3, 52, v5
	v_lshlrev_b64 v[66:67], 4, v[1:2]
	v_sub_nc_u32_e32 v64, v0, v3
	s_and_saveexec_b32 s1, vcc_lo
	s_cbranch_execz .LBB0_13
; %bb.10:
	v_mov_b32_e32 v65, 0
	v_add_co_u32 v0, s0, s2, v66
	v_add_co_ci_u32_e64 v1, s0, s3, v67, s0
	v_lshlrev_b64 v[2:3], 4, v[64:65]
	v_lshl_add_u32 v54, v64, 4, 0
	s_mov_b32 s4, exec_lo
	v_add_co_u32 v26, s0, v0, v2
	v_add_co_ci_u32_e64 v27, s0, v1, v3, s0
	v_add_co_u32 v18, s0, 0x800, v26
	v_add_co_ci_u32_e64 v19, s0, 0, v27, s0
	;; [unrolled: 2-line block ×5, first 2 shown]
	s_clause 0xc
	global_load_dwordx4 v[2:5], v[26:27], off
	global_load_dwordx4 v[6:9], v[26:27], off offset:832
	global_load_dwordx4 v[10:13], v[26:27], off offset:1664
	;; [unrolled: 1-line block ×12, first 2 shown]
	s_waitcnt vmcnt(12)
	ds_write_b128 v54, v[2:5]
	s_waitcnt vmcnt(11)
	ds_write_b128 v54, v[6:9] offset:832
	s_waitcnt vmcnt(10)
	ds_write_b128 v54, v[10:13] offset:1664
	;; [unrolled: 2-line block ×12, first 2 shown]
	v_cmpx_eq_u32_e32 51, v64
	s_cbranch_execz .LBB0_12
; %bb.11:
	v_add_co_u32 v0, s0, 0x2800, v0
	v_add_co_ci_u32_e64 v1, s0, 0, v1, s0
	v_mov_b32_e32 v64, 51
	global_load_dwordx4 v[0:3], v[0:1], off offset:576
	s_waitcnt vmcnt(0)
	ds_write_b128 v65, v[0:3] offset:10816
.LBB0_12:
	s_or_b32 exec_lo, exec_lo, s4
.LBB0_13:
	s_or_b32 exec_lo, exec_lo, s1
	v_lshlrev_b32_e32 v0, 4, v64
	s_waitcnt lgkmcnt(0)
	s_barrier
	buffer_gl0_inv
	s_add_u32 s1, s8, 0x2970
	v_add_nc_u32_e32 v100, 0, v0
	v_sub_nc_u32_e32 v10, 0, v0
	s_addc_u32 s4, s9, 0
	s_mov_b32 s5, exec_lo
                                        ; implicit-def: $vgpr4_vgpr5
	ds_read_b64 v[6:7], v100
	ds_read_b64 v[8:9], v10 offset:10816
	s_waitcnt lgkmcnt(0)
	v_add_f64 v[0:1], v[6:7], v[8:9]
	v_add_f64 v[2:3], v[6:7], -v[8:9]
	v_cmpx_ne_u32_e32 0, v64
	s_xor_b32 s5, exec_lo, s5
	s_cbranch_execz .LBB0_15
; %bb.14:
	v_mov_b32_e32 v65, 0
	v_add_f64 v[13:14], v[6:7], v[8:9]
	v_add_f64 v[15:16], v[6:7], -v[8:9]
	v_lshlrev_b64 v[0:1], 4, v[64:65]
	v_add_co_u32 v0, s0, s1, v0
	v_add_co_ci_u32_e64 v1, s0, s4, v1, s0
	global_load_dwordx4 v[2:5], v[0:1], off
	ds_read_b64 v[0:1], v10 offset:10824
	ds_read_b64 v[11:12], v100 offset:8
	s_waitcnt lgkmcnt(0)
	v_add_f64 v[6:7], v[0:1], v[11:12]
	v_add_f64 v[0:1], v[11:12], -v[0:1]
	s_waitcnt vmcnt(0)
	v_fma_f64 v[8:9], v[15:16], v[4:5], v[13:14]
	v_fma_f64 v[11:12], -v[15:16], v[4:5], v[13:14]
	v_fma_f64 v[13:14], v[6:7], v[4:5], -v[0:1]
	v_fma_f64 v[4:5], v[6:7], v[4:5], v[0:1]
	v_fma_f64 v[0:1], -v[6:7], v[2:3], v[8:9]
	v_fma_f64 v[6:7], v[6:7], v[2:3], v[11:12]
	v_fma_f64 v[8:9], v[15:16], v[2:3], v[13:14]
	;; [unrolled: 1-line block ×3, first 2 shown]
	v_mov_b32_e32 v4, v64
	v_mov_b32_e32 v5, v65
	ds_write_b128 v10, v[6:9] offset:10816
.LBB0_15:
	s_andn2_saveexec_b32 s0, s5
	s_cbranch_execz .LBB0_17
; %bb.16:
	v_mov_b32_e32 v8, 0
	ds_read_b128 v[4:7], v8 offset:5408
	s_waitcnt lgkmcnt(0)
	v_add_f64 v[11:12], v[4:5], v[4:5]
	v_mul_f64 v[13:14], v[6:7], -2.0
	v_mov_b32_e32 v4, 0
	v_mov_b32_e32 v5, 0
	ds_write_b128 v8, v[11:14] offset:5408
.LBB0_17:
	s_or_b32 exec_lo, exec_lo, s0
	v_lshlrev_b64 v[4:5], 4, v[4:5]
	v_add_co_u32 v27, s0, s1, v4
	v_add_co_ci_u32_e64 v28, s0, s4, v5, s0
	s_mov_b32 s1, exec_lo
	v_add_co_u32 v8, s0, 0x800, v27
	s_clause 0x1
	global_load_dwordx4 v[4:7], v[27:28], off offset:832
	global_load_dwordx4 v[11:14], v[27:28], off offset:1664
	v_add_co_ci_u32_e64 v9, s0, 0, v28, s0
	ds_write_b128 v100, v[0:3]
	global_load_dwordx4 v[15:18], v[8:9], off offset:448
	ds_read_b128 v[0:3], v100 offset:832
	ds_read_b128 v[19:22], v10 offset:9984
	global_load_dwordx4 v[23:26], v[8:9], off offset:1280
	s_waitcnt lgkmcnt(0)
	v_add_f64 v[8:9], v[0:1], v[19:20]
	v_add_f64 v[29:30], v[21:22], v[2:3]
	v_add_f64 v[0:1], v[0:1], -v[19:20]
	v_add_f64 v[2:3], v[2:3], -v[21:22]
	s_waitcnt vmcnt(3)
	v_fma_f64 v[19:20], v[0:1], v[6:7], v[8:9]
	v_fma_f64 v[21:22], v[29:30], v[6:7], v[2:3]
	v_fma_f64 v[31:32], -v[0:1], v[6:7], v[8:9]
	v_fma_f64 v[33:34], v[29:30], v[6:7], -v[2:3]
	v_fma_f64 v[6:7], -v[29:30], v[4:5], v[19:20]
	v_fma_f64 v[8:9], v[0:1], v[4:5], v[21:22]
	v_fma_f64 v[2:3], v[29:30], v[4:5], v[31:32]
	v_fma_f64 v[4:5], v[0:1], v[4:5], v[33:34]
	v_add_co_u32 v0, s0, 0x1000, v27
	v_add_co_ci_u32_e64 v1, s0, 0, v28, s0
	ds_write_b128 v100, v[6:9] offset:832
	ds_write_b128 v10, v[2:5] offset:9984
	ds_read_b128 v[2:5], v100 offset:1664
	ds_read_b128 v[6:9], v10 offset:9152
	global_load_dwordx4 v[19:22], v[0:1], off offset:64
	s_waitcnt lgkmcnt(0)
	v_add_f64 v[27:28], v[2:3], v[6:7]
	v_add_f64 v[29:30], v[8:9], v[4:5]
	v_add_f64 v[31:32], v[2:3], -v[6:7]
	v_add_f64 v[2:3], v[4:5], -v[8:9]
	s_waitcnt vmcnt(3)
	v_fma_f64 v[4:5], v[31:32], v[13:14], v[27:28]
	v_fma_f64 v[6:7], v[29:30], v[13:14], v[2:3]
	v_fma_f64 v[8:9], -v[31:32], v[13:14], v[27:28]
	v_fma_f64 v[13:14], v[29:30], v[13:14], -v[2:3]
	v_fma_f64 v[2:3], -v[29:30], v[11:12], v[4:5]
	v_fma_f64 v[4:5], v[31:32], v[11:12], v[6:7]
	v_fma_f64 v[6:7], v[29:30], v[11:12], v[8:9]
	v_fma_f64 v[8:9], v[31:32], v[11:12], v[13:14]
	ds_write_b128 v100, v[2:5] offset:1664
	ds_write_b128 v10, v[6:9] offset:9152
	ds_read_b128 v[2:5], v100 offset:2496
	ds_read_b128 v[6:9], v10 offset:8320
	s_waitcnt lgkmcnt(0)
	v_add_f64 v[11:12], v[2:3], v[6:7]
	v_add_f64 v[13:14], v[8:9], v[4:5]
	v_add_f64 v[27:28], v[2:3], -v[6:7]
	v_add_f64 v[2:3], v[4:5], -v[8:9]
	s_waitcnt vmcnt(2)
	v_fma_f64 v[4:5], v[27:28], v[17:18], v[11:12]
	v_fma_f64 v[6:7], v[13:14], v[17:18], v[2:3]
	v_fma_f64 v[8:9], -v[27:28], v[17:18], v[11:12]
	v_fma_f64 v[11:12], v[13:14], v[17:18], -v[2:3]
	v_fma_f64 v[2:3], -v[13:14], v[15:16], v[4:5]
	v_fma_f64 v[4:5], v[27:28], v[15:16], v[6:7]
	v_fma_f64 v[6:7], v[13:14], v[15:16], v[8:9]
	v_fma_f64 v[8:9], v[27:28], v[15:16], v[11:12]
	ds_write_b128 v100, v[2:5] offset:2496
	ds_write_b128 v10, v[6:9] offset:8320
	ds_read_b128 v[2:5], v100 offset:3328
	ds_read_b128 v[6:9], v10 offset:7488
	;; [unrolled: 18-line block ×3, first 2 shown]
	s_waitcnt lgkmcnt(0)
	v_add_f64 v[11:12], v[2:3], v[6:7]
	v_add_f64 v[13:14], v[8:9], v[4:5]
	v_add_f64 v[15:16], v[2:3], -v[6:7]
	v_add_f64 v[2:3], v[4:5], -v[8:9]
	s_waitcnt vmcnt(0)
	v_fma_f64 v[4:5], v[15:16], v[21:22], v[11:12]
	v_fma_f64 v[6:7], v[13:14], v[21:22], v[2:3]
	v_fma_f64 v[8:9], -v[15:16], v[21:22], v[11:12]
	v_fma_f64 v[11:12], v[13:14], v[21:22], -v[2:3]
	v_fma_f64 v[2:3], -v[13:14], v[19:20], v[4:5]
	v_fma_f64 v[4:5], v[15:16], v[19:20], v[6:7]
	v_fma_f64 v[6:7], v[13:14], v[19:20], v[8:9]
	;; [unrolled: 1-line block ×3, first 2 shown]
	ds_write_b128 v100, v[2:5] offset:4160
	ds_write_b128 v10, v[6:9] offset:6656
	v_cmpx_gt_u32_e32 26, v64
	s_cbranch_execz .LBB0_19
; %bb.18:
	global_load_dwordx4 v[0:3], v[0:1], off offset:896
	ds_read_b128 v[4:7], v100 offset:4992
	ds_read_b128 v[11:14], v10 offset:5824
	s_waitcnt lgkmcnt(0)
	v_add_f64 v[8:9], v[4:5], v[11:12]
	v_add_f64 v[15:16], v[13:14], v[6:7]
	v_add_f64 v[11:12], v[4:5], -v[11:12]
	v_add_f64 v[4:5], v[6:7], -v[13:14]
	s_waitcnt vmcnt(0)
	v_fma_f64 v[6:7], v[11:12], v[2:3], v[8:9]
	v_fma_f64 v[13:14], v[15:16], v[2:3], v[4:5]
	v_fma_f64 v[8:9], -v[11:12], v[2:3], v[8:9]
	v_fma_f64 v[17:18], v[15:16], v[2:3], -v[4:5]
	v_fma_f64 v[2:3], -v[15:16], v[0:1], v[6:7]
	v_fma_f64 v[4:5], v[11:12], v[0:1], v[13:14]
	v_fma_f64 v[6:7], v[15:16], v[0:1], v[8:9]
	;; [unrolled: 1-line block ×3, first 2 shown]
	ds_write_b128 v100, v[2:5] offset:4992
	ds_write_b128 v10, v[6:9] offset:5824
.LBB0_19:
	s_or_b32 exec_lo, exec_lo, s1
	s_waitcnt lgkmcnt(0)
	s_barrier
	buffer_gl0_inv
	s_barrier
	buffer_gl0_inv
	ds_read_b128 v[0:3], v100
	ds_read_b128 v[8:11], v100 offset:832
	ds_read_b128 v[4:7], v100 offset:9984
	;; [unrolled: 1-line block ×12, first 2 shown]
	s_mov_b32 s22, 0x4267c47c
	s_mov_b32 s24, 0xe00740e9
	;; [unrolled: 1-line block ×8, first 2 shown]
	s_waitcnt lgkmcnt(11)
	v_add_f64 v[20:21], v[0:1], v[8:9]
	v_add_f64 v[22:23], v[2:3], v[10:11]
	s_waitcnt lgkmcnt(10)
	v_add_f64 v[44:45], v[10:11], -v[6:7]
	v_add_f64 v[10:11], v[10:11], v[6:7]
	v_add_f64 v[101:102], v[8:9], v[4:5]
	v_add_f64 v[8:9], v[8:9], -v[4:5]
	s_mov_b32 s29, 0x3fddbe06
	s_mov_b32 s28, s22
	;; [unrolled: 1-line block ×4, first 2 shown]
	s_waitcnt lgkmcnt(1)
	v_add_f64 v[56:57], v[60:61], -v[98:99]
	s_waitcnt lgkmcnt(0)
	v_add_f64 v[52:53], v[18:19], -v[14:15]
	v_add_f64 v[72:73], v[18:19], v[14:15]
	v_add_f64 v[74:75], v[60:61], v[98:99]
	s_mov_b32 s7, 0xbfefc445
	s_mov_b32 s13, 0x3fbedb7d
	;; [unrolled: 1-line block ×4, first 2 shown]
	v_add_f64 v[38:39], v[36:37], v[94:95]
	v_add_f64 v[42:43], v[36:37], -v[94:95]
	v_add_f64 v[40:41], v[58:59], v[96:97]
	s_mov_b32 s4, 0x2ef20147
	v_add_f64 v[20:21], v[20:21], v[16:17]
	v_add_f64 v[24:25], v[22:23], v[18:19]
	v_mul_f64 v[103:104], v[44:45], s[22:23]
	v_mul_f64 v[105:106], v[10:11], s[24:25]
	v_add_f64 v[22:23], v[16:17], v[12:13]
	s_mov_b32 s16, 0xb2365da1
	s_mov_b32 s5, 0xbfedeba7
	;; [unrolled: 1-line block ×5, first 2 shown]
	v_mul_f64 v[48:49], v[56:57], s[6:7]
	v_mul_f64 v[46:47], v[52:53], s[10:11]
	;; [unrolled: 1-line block ×4, first 2 shown]
	v_add_f64 v[26:27], v[34:35], v[92:93]
	v_add_f64 v[28:29], v[34:35], -v[92:93]
	v_add_f64 v[32:33], v[78:79], v[90:91]
	v_mul_f64 v[113:114], v[44:45], s[10:11]
	v_mul_f64 v[121:122], v[10:11], s[14:15]
	;; [unrolled: 1-line block ×3, first 2 shown]
	s_mov_b32 s0, 0x24c2f84
	s_mov_b32 s34, 0x4bc48dbf
	v_add_f64 v[18:19], v[20:21], v[58:59]
	v_add_f64 v[24:25], v[24:25], v[60:61]
	v_fma_f64 v[30:31], v[101:102], s[24:25], v[103:104]
	v_add_f64 v[60:61], v[16:17], -v[12:13]
	v_fma_f64 v[50:51], v[8:9], s[28:29], v[105:106]
	v_add_f64 v[58:59], v[58:59], -v[96:97]
	v_add_f64 v[16:17], v[80:81], v[84:85]
	s_mov_b32 s38, 0xd0032e0c
	s_mov_b32 s36, 0x93053d00
	;; [unrolled: 1-line block ×3, first 2 shown]
	v_fma_f64 v[133:134], v[40:41], s[12:13], v[48:49]
	v_fma_f64 v[109:110], v[22:23], s[14:15], v[46:47]
	s_mov_b32 s35, 0xbfcea1e5
	s_mov_b32 s39, 0xbfe7f3cc
	;; [unrolled: 1-line block ×5, first 2 shown]
	v_add_f64 v[20:21], v[76:77], v[88:89]
	v_mul_f64 v[115:116], v[44:45], s[6:7]
	v_mul_f64 v[117:118], v[44:45], s[4:5]
	;; [unrolled: 1-line block ×4, first 2 shown]
	v_add_f64 v[62:63], v[18:19], v[34:35]
	v_add_f64 v[107:108], v[24:25], v[36:37]
	;; [unrolled: 1-line block ×3, first 2 shown]
	v_fma_f64 v[127:128], v[60:61], s[18:19], v[68:69]
	v_add_f64 v[129:130], v[2:3], v[50:51]
	v_add_f64 v[36:37], v[78:79], -v[90:91]
	v_add_f64 v[30:31], v[82:83], v[86:87]
	v_add_f64 v[18:19], v[80:81], -v[84:85]
	v_add_f64 v[34:35], v[82:83], -v[86:87]
	v_fma_f64 v[149:150], v[58:59], s[20:21], v[70:71]
	v_add_f64 v[24:25], v[76:77], -v[88:89]
	v_mul_f64 v[125:126], v[10:11], s[12:13]
	v_mul_f64 v[135:136], v[10:11], s[38:39]
	;; [unrolled: 1-line block ×5, first 2 shown]
	v_fma_f64 v[145:146], v[101:102], s[14:15], v[113:114]
	v_fma_f64 v[147:148], v[8:9], s[18:19], v[121:122]
	v_fma_f64 v[113:114], v[101:102], s[14:15], -v[113:114]
	v_fma_f64 v[121:122], v[8:9], s[10:11], v[121:122]
	s_mov_b32 s41, 0x3fe5384d
	s_mov_b32 s31, 0x3fcea1e5
	v_add_f64 v[131:132], v[62:63], v[76:77]
	v_add_f64 v[107:108], v[107:108], v[78:79]
	;; [unrolled: 1-line block ×3, first 2 shown]
	v_mul_f64 v[62:63], v[38:39], s[16:17]
	v_add_f64 v[127:128], v[127:128], v[129:130]
	v_mul_f64 v[111:112], v[10:11], s[16:17]
	v_mul_f64 v[10:11], v[10:11], s[36:37]
	;; [unrolled: 1-line block ×3, first 2 shown]
	s_mov_b32 s40, s0
	s_mov_b32 s30, s34
	v_mul_f64 v[141:142], v[56:57], s[34:35]
	v_mul_f64 v[143:144], v[74:75], s[36:37]
	;; [unrolled: 1-line block ×4, first 2 shown]
	v_fma_f64 v[103:104], v[101:102], s[24:25], -v[103:104]
	v_fma_f64 v[151:152], v[101:102], s[16:17], v[117:118]
	v_fma_f64 v[117:118], v[101:102], s[16:17], -v[117:118]
	v_fma_f64 v[153:154], v[101:102], s[38:39], v[119:120]
	v_fma_f64 v[155:156], v[22:23], s[16:17], v[137:138]
	;; [unrolled: 1-line block ×3, first 2 shown]
	v_fma_f64 v[137:138], v[22:23], s[16:17], -v[137:138]
	v_fma_f64 v[139:140], v[60:61], s[4:5], v[139:140]
	v_add_f64 v[80:81], v[131:132], v[80:81]
	v_add_f64 v[82:83], v[107:108], v[82:83]
	v_fma_f64 v[107:108], v[26:27], s[16:17], v[54:55]
	v_add_f64 v[109:110], v[133:134], v[109:110]
	v_fma_f64 v[159:160], v[28:29], s[26:27], v[62:63]
	;; [unrolled: 2-line block ×3, first 2 shown]
	v_fma_f64 v[115:116], v[101:102], s[12:13], -v[115:116]
	v_add_f64 v[145:146], v[0:1], v[145:146]
	v_add_f64 v[147:148], v[2:3], v[147:148]
	;; [unrolled: 1-line block ×4, first 2 shown]
	v_fma_f64 v[105:106], v[8:9], s[22:23], v[105:106]
	v_fma_f64 v[149:150], v[8:9], s[40:41], v[135:136]
	;; [unrolled: 1-line block ×4, first 2 shown]
	v_mul_f64 v[129:130], v[42:43], s[40:41]
	v_mul_f64 v[131:132], v[38:39], s[38:39]
	v_add_f64 v[103:104], v[0:1], v[103:104]
	v_add_f64 v[117:118], v[0:1], v[117:118]
	v_mul_f64 v[163:164], v[38:39], s[24:25]
	v_add_f64 v[80:81], v[80:81], v[84:85]
	v_add_f64 v[82:83], v[82:83], v[86:87]
	v_fma_f64 v[84:85], v[20:21], s[38:39], v[44:45]
	v_add_f64 v[86:87], v[107:108], v[109:110]
	v_fma_f64 v[107:108], v[101:102], s[38:39], -v[119:120]
	v_fma_f64 v[109:110], v[101:102], s[36:37], v[123:124]
	v_fma_f64 v[101:102], v[101:102], s[36:37], -v[123:124]
	v_fma_f64 v[119:120], v[8:9], s[20:21], v[125:126]
	v_fma_f64 v[123:124], v[8:9], s[6:7], v[125:126]
	;; [unrolled: 1-line block ×6, first 2 shown]
	v_add_f64 v[127:128], v[159:160], v[127:128]
	v_add_f64 v[145:146], v[155:156], v[145:146]
	;; [unrolled: 1-line block ×6, first 2 shown]
	v_mul_f64 v[151:152], v[52:53], s[34:35]
	v_add_f64 v[105:106], v[2:3], v[105:106]
	v_add_f64 v[133:134], v[0:1], v[133:134]
	;; [unrolled: 1-line block ×4, first 2 shown]
	v_fma_f64 v[88:89], v[40:41], s[36:37], v[141:142]
	v_add_f64 v[84:85], v[84:85], v[86:87]
	v_fma_f64 v[86:87], v[58:59], s[30:31], v[143:144]
	v_fma_f64 v[90:91], v[40:41], s[36:37], -v[141:142]
	v_add_f64 v[141:142], v[2:3], v[149:150]
	v_fma_f64 v[143:144], v[58:59], s[34:35], v[143:144]
	v_fma_f64 v[149:150], v[16:17], s[36:37], v[76:77]
	v_add_f64 v[119:120], v[2:3], v[119:120]
	v_add_f64 v[115:116], v[0:1], v[115:116]
	;; [unrolled: 1-line block ×5, first 2 shown]
	v_mul_f64 v[127:128], v[72:73], s[36:37]
	v_add_f64 v[111:112], v[2:3], v[111:112]
	v_add_f64 v[139:140], v[0:1], v[153:154]
	;; [unrolled: 1-line block ×5, first 2 shown]
	v_mul_f64 v[153:154], v[36:37], s[20:21]
	v_mul_f64 v[155:156], v[32:33], s[12:13]
	v_add_f64 v[80:81], v[80:81], v[92:93]
	v_fma_f64 v[92:93], v[18:19], s[30:31], v[78:79]
	v_add_f64 v[82:83], v[82:83], v[94:95]
	v_add_f64 v[94:95], v[2:3], v[161:162]
	;; [unrolled: 1-line block ×3, first 2 shown]
	v_fma_f64 v[145:146], v[26:27], s[38:39], v[129:130]
	v_add_f64 v[86:87], v[86:87], v[147:148]
	v_fma_f64 v[147:148], v[28:29], s[0:1], v[131:132]
	v_add_f64 v[90:91], v[90:91], v[113:114]
	v_fma_f64 v[113:114], v[26:27], s[38:39], -v[129:130]
	v_mul_f64 v[129:130], v[52:53], s[40:41]
	v_add_f64 v[101:102], v[0:1], v[101:102]
	v_add_f64 v[157:158], v[2:3], v[8:9]
	v_fma_f64 v[8:9], v[28:29], s[40:41], v[131:132]
	v_mul_f64 v[131:132], v[72:73], s[38:39]
	v_add_f64 v[121:122], v[143:144], v[121:122]
	v_add_f64 v[0:1], v[149:150], v[84:85]
	v_mul_f64 v[143:144], v[56:57], s[26:27]
	v_fma_f64 v[149:150], v[60:61], s[30:31], v[127:128]
	v_fma_f64 v[84:85], v[22:23], s[36:37], v[151:152]
	v_mul_f64 v[159:160], v[74:75], s[16:17]
	v_fma_f64 v[127:128], v[60:61], s[34:35], v[127:128]
	v_mul_f64 v[161:162], v[74:75], s[24:25]
	v_add_f64 v[2:3], v[92:93], v[10:11]
	v_add_f64 v[10:11], v[80:81], v[96:97]
	v_add_f64 v[80:81], v[82:83], v[98:99]
	v_fma_f64 v[82:83], v[22:23], s[36:37], -v[151:152]
	v_mul_f64 v[92:93], v[34:35], s[28:29]
	v_add_f64 v[88:89], v[145:146], v[88:89]
	v_fma_f64 v[96:97], v[20:21], s[12:13], v[153:154]
	v_add_f64 v[86:87], v[147:148], v[86:87]
	v_fma_f64 v[98:99], v[24:25], s[6:7], v[155:156]
	;; [unrolled: 2-line block ×3, first 2 shown]
	v_mul_f64 v[145:146], v[56:57], s[28:29]
	v_fma_f64 v[151:152], v[20:21], s[12:13], -v[153:154]
	v_fma_f64 v[153:154], v[60:61], s[0:1], v[131:132]
	v_mul_f64 v[147:148], v[30:31], s[24:25]
	v_add_f64 v[8:9], v[8:9], v[121:122]
	v_fma_f64 v[121:122], v[40:41], s[16:17], v[143:144]
	v_add_f64 v[119:120], v[149:150], v[119:120]
	v_mul_f64 v[149:150], v[42:43], s[28:29]
	v_add_f64 v[84:85], v[84:85], v[133:134]
	v_fma_f64 v[133:134], v[58:59], s[4:5], v[159:160]
	v_fma_f64 v[155:156], v[24:25], s[20:21], v[155:156]
	v_fma_f64 v[129:130], v[22:23], s[38:39], -v[129:130]
	v_add_f64 v[12:13], v[10:11], v[12:13]
	v_add_f64 v[14:15], v[80:81], v[14:15]
	;; [unrolled: 1-line block ×3, first 2 shown]
	v_fma_f64 v[115:116], v[40:41], s[16:17], -v[143:144]
	v_fma_f64 v[80:81], v[16:17], s[24:25], v[92:93]
	v_add_f64 v[10:11], v[96:97], v[88:89]
	v_add_f64 v[88:89], v[127:128], v[123:124]
	v_fma_f64 v[96:97], v[58:59], s[26:27], v[159:160]
	v_mul_f64 v[127:128], v[42:43], s[6:7]
	v_add_f64 v[113:114], v[113:114], v[137:138]
	v_fma_f64 v[123:124], v[40:41], s[24:25], v[145:146]
	v_add_f64 v[86:87], v[98:99], v[86:87]
	v_add_f64 v[98:99], v[153:154], v[125:126]
	v_fma_f64 v[125:126], v[58:59], s[22:23], v[161:162]
	v_mul_f64 v[143:144], v[38:39], s[12:13]
	v_mul_f64 v[153:154], v[36:37], s[10:11]
	v_fma_f64 v[131:132], v[60:61], s[40:41], v[131:132]
	v_fma_f64 v[137:138], v[18:19], s[22:23], v[147:148]
	v_add_f64 v[84:85], v[121:122], v[84:85]
	v_add_f64 v[119:120], v[133:134], v[119:120]
	v_fma_f64 v[121:122], v[26:27], s[24:25], v[149:150]
	v_fma_f64 v[133:134], v[28:29], s[22:23], v[163:164]
	v_mul_f64 v[159:160], v[32:33], s[14:15]
	v_add_f64 v[90:91], v[151:152], v[90:91]
	v_mul_f64 v[151:152], v[52:53], s[20:21]
	v_add_f64 v[82:83], v[115:116], v[82:83]
	v_fma_f64 v[115:116], v[26:27], s[24:25], -v[149:150]
	v_add_f64 v[149:150], v[155:156], v[8:9]
	v_add_f64 v[8:9], v[80:81], v[10:11]
	;; [unrolled: 1-line block ×3, first 2 shown]
	v_fma_f64 v[88:89], v[28:29], s[28:29], v[163:164]
	v_add_f64 v[117:118], v[129:130], v[117:118]
	v_add_f64 v[96:97], v[123:124], v[113:114]
	v_fma_f64 v[113:114], v[26:27], s[12:13], v[127:128]
	v_mul_f64 v[123:124], v[36:37], s[30:31]
	v_add_f64 v[98:99], v[125:126], v[98:99]
	v_mul_f64 v[125:126], v[72:73], s[12:13]
	v_fma_f64 v[155:156], v[28:29], s[20:21], v[143:144]
	v_fma_f64 v[129:130], v[40:41], s[24:25], -v[145:146]
	v_mul_f64 v[145:146], v[32:33], s[36:37]
	v_add_f64 v[111:112], v[131:132], v[111:112]
	v_fma_f64 v[131:132], v[58:59], s[28:29], v[161:162]
	v_add_f64 v[10:11], v[137:138], v[86:87]
	v_add_f64 v[84:85], v[121:122], v[84:85]
	;; [unrolled: 1-line block ×3, first 2 shown]
	v_fma_f64 v[119:120], v[20:21], s[14:15], v[153:154]
	v_fma_f64 v[121:122], v[24:25], s[18:19], v[159:160]
	v_add_f64 v[4:5], v[12:13], v[4:5]
	v_add_f64 v[82:83], v[115:116], v[82:83]
	v_fma_f64 v[115:116], v[20:21], s[14:15], -v[153:154]
	v_mul_f64 v[12:13], v[34:35], s[0:1]
	v_fma_f64 v[133:134], v[22:23], s[12:13], v[151:152]
	v_add_f64 v[80:81], v[88:89], v[80:81]
	v_fma_f64 v[88:89], v[24:25], s[10:11], v[159:160]
	v_mul_f64 v[137:138], v[56:57], s[10:11]
	v_add_f64 v[96:97], v[113:114], v[96:97]
	v_fma_f64 v[113:114], v[20:21], s[36:37], v[123:124]
	v_mul_f64 v[159:160], v[74:75], s[14:15]
	v_fma_f64 v[153:154], v[60:61], s[6:7], v[125:126]
	v_add_f64 v[98:99], v[155:156], v[98:99]
	v_add_f64 v[117:118], v[129:130], v[117:118]
	v_fma_f64 v[129:130], v[24:25], s[34:35], v[145:146]
	v_fma_f64 v[127:128], v[26:27], s[12:13], -v[127:128]
	v_mul_f64 v[52:53], v[52:53], s[28:29]
	v_mul_f64 v[72:73], v[72:73], s[24:25]
	v_add_f64 v[6:7], v[14:15], v[6:7]
	v_mul_f64 v[14:15], v[30:31], s[38:39]
	v_add_f64 v[111:112], v[131:132], v[111:112]
	v_add_f64 v[86:87], v[121:122], v[86:87]
	v_fma_f64 v[125:126], v[60:61], s[20:21], v[125:126]
	v_mul_f64 v[56:57], v[56:57], s[0:1]
	v_add_f64 v[82:83], v[115:116], v[82:83]
	v_fma_f64 v[115:116], v[28:29], s[6:7], v[143:144]
	v_mul_f64 v[74:75], v[74:75], s[38:39]
	v_fma_f64 v[143:144], v[16:17], s[38:39], -v[12:13]
	v_add_f64 v[80:81], v[88:89], v[80:81]
	v_fma_f64 v[88:89], v[16:17], s[38:39], v[12:13]
	v_fma_f64 v[121:122], v[40:41], s[14:15], v[137:138]
	v_add_f64 v[96:97], v[113:114], v[96:97]
	v_add_f64 v[113:114], v[133:134], v[139:140]
	;; [unrolled: 1-line block ×3, first 2 shown]
	v_fma_f64 v[133:134], v[58:59], s[18:19], v[159:160]
	v_fma_f64 v[139:140], v[22:23], s[12:13], -v[151:152]
	v_add_f64 v[98:99], v[129:130], v[98:99]
	v_add_f64 v[117:118], v[127:128], v[117:118]
	v_fma_f64 v[127:128], v[22:23], s[24:25], v[52:53]
	v_fma_f64 v[129:130], v[60:61], s[22:23], v[72:73]
	v_fma_f64 v[12:13], v[22:23], s[24:25], -v[52:53]
	v_fma_f64 v[141:142], v[18:19], s[40:41], v[14:15]
	v_fma_f64 v[52:53], v[60:61], s[28:29], v[72:73]
	v_fma_f64 v[22:23], v[22:23], s[14:15], -v[46:47]
	v_mul_f64 v[46:47], v[38:39], s[36:37]
	v_add_f64 v[125:126], v[125:126], v[135:136]
	v_mul_f64 v[38:39], v[38:39], s[14:15]
	v_add_f64 v[72:73], v[115:116], v[111:112]
	v_fma_f64 v[115:116], v[18:19], s[0:1], v[14:15]
	v_fma_f64 v[14:15], v[60:61], s[10:11], v[68:69]
	v_mul_f64 v[111:112], v[42:43], s[30:31]
	v_mul_f64 v[42:43], v[42:43], s[18:19]
	;; [unrolled: 1-line block ×3, first 2 shown]
	v_add_f64 v[84:85], v[119:120], v[84:85]
	v_add_f64 v[68:69], v[121:122], v[113:114]
	v_mul_f64 v[113:114], v[30:31], s[14:15]
	v_add_f64 v[121:122], v[133:134], v[131:132]
	v_add_f64 v[107:108], v[139:140], v[107:108]
	v_fma_f64 v[131:132], v[40:41], s[14:15], -v[137:138]
	v_fma_f64 v[133:134], v[58:59], s[10:11], v[159:160]
	v_add_f64 v[109:110], v[127:128], v[109:110]
	v_add_f64 v[94:95], v[129:130], v[94:95]
	v_fma_f64 v[127:128], v[40:41], s[38:39], v[56:57]
	v_fma_f64 v[129:130], v[58:59], s[40:41], v[74:75]
	v_add_f64 v[52:53], v[52:53], v[157:158]
	v_fma_f64 v[56:57], v[40:41], s[38:39], -v[56:57]
	v_fma_f64 v[74:75], v[58:59], s[0:1], v[74:75]
	v_add_f64 v[22:23], v[22:23], v[103:104]
	v_fma_f64 v[40:41], v[40:41], s[12:13], -v[48:49]
	v_fma_f64 v[48:49], v[58:59], s[6:7], v[70:71]
	v_add_f64 v[12:13], v[12:13], v[101:102]
	v_add_f64 v[14:15], v[14:15], v[105:106]
	v_fma_f64 v[101:102], v[26:27], s[36:37], v[111:112]
	v_fma_f64 v[135:136], v[28:29], s[34:35], v[46:47]
	v_fma_f64 v[58:59], v[20:21], s[36:37], -v[123:124]
	v_mul_f64 v[103:104], v[36:37], s[28:29]
	v_mul_f64 v[105:106], v[32:33], s[24:25]
	v_fma_f64 v[111:112], v[26:27], s[36:37], -v[111:112]
	v_fma_f64 v[46:47], v[28:29], s[30:31], v[46:47]
	v_mul_f64 v[36:37], v[36:37], s[4:5]
	v_add_f64 v[107:108], v[131:132], v[107:108]
	v_add_f64 v[123:124], v[133:134], v[125:126]
	v_fma_f64 v[125:126], v[26:27], s[14:15], v[42:43]
	v_mul_f64 v[32:33], v[32:33], s[16:17]
	v_add_f64 v[109:110], v[127:128], v[109:110]
	v_fma_f64 v[127:128], v[28:29], s[10:11], v[38:39]
	v_fma_f64 v[42:43], v[26:27], s[14:15], -v[42:43]
	v_fma_f64 v[38:39], v[28:29], s[18:19], v[38:39]
	v_add_f64 v[52:53], v[74:75], v[52:53]
	v_fma_f64 v[26:27], v[26:27], s[16:17], -v[54:55]
	v_add_f64 v[22:23], v[40:41], v[22:23]
	v_fma_f64 v[28:29], v[28:29], s[4:5], v[62:63]
	v_add_f64 v[94:95], v[129:130], v[94:95]
	v_add_f64 v[14:15], v[48:49], v[14:15]
	;; [unrolled: 1-line block ×3, first 2 shown]
	v_fma_f64 v[70:71], v[24:25], s[30:31], v[145:146]
	v_add_f64 v[56:57], v[101:102], v[68:69]
	v_add_f64 v[68:69], v[135:136], v[121:122]
	v_fma_f64 v[40:41], v[20:21], s[24:25], v[103:104]
	v_fma_f64 v[48:49], v[24:25], s[22:23], v[105:106]
	v_mul_f64 v[54:55], v[34:35], s[4:5]
	v_mul_f64 v[62:63], v[30:31], s[16:17]
	v_add_f64 v[74:75], v[111:112], v[107:108]
	v_add_f64 v[46:47], v[46:47], v[123:124]
	v_fma_f64 v[101:102], v[20:21], s[24:25], -v[103:104]
	v_fma_f64 v[103:104], v[24:25], s[28:29], v[105:106]
	v_add_f64 v[105:106], v[125:126], v[109:110]
	v_fma_f64 v[107:108], v[20:21], s[16:17], v[36:37]
	v_fma_f64 v[109:110], v[24:25], s[26:27], v[32:33]
	v_mul_f64 v[30:31], v[30:31], s[12:13]
	v_add_f64 v[38:39], v[38:39], v[52:53]
	v_fma_f64 v[36:37], v[20:21], s[16:17], -v[36:37]
	v_fma_f64 v[32:33], v[24:25], s[4:5], v[32:33]
	v_add_f64 v[22:23], v[26:27], v[22:23]
	v_fma_f64 v[20:21], v[20:21], s[38:39], -v[44:45]
	v_add_f64 v[14:15], v[28:29], v[14:15]
	v_fma_f64 v[24:25], v[24:25], s[0:1], v[50:51]
	v_add_f64 v[94:95], v[127:128], v[94:95]
	v_mul_f64 v[34:35], v[34:35], s[20:21]
	v_add_f64 v[12:13], v[42:43], v[12:13]
	v_fma_f64 v[52:53], v[18:19], s[10:11], v[113:114]
	v_fma_f64 v[42:43], v[16:17], s[14:15], v[60:61]
	v_add_f64 v[28:29], v[58:59], v[117:118]
	v_add_f64 v[50:51], v[70:71], v[72:73]
	v_fma_f64 v[44:45], v[16:17], s[14:15], -v[60:61]
	v_add_f64 v[40:41], v[40:41], v[56:57]
	v_add_f64 v[48:49], v[48:49], v[68:69]
	v_fma_f64 v[56:57], v[16:17], s[16:17], v[54:55]
	v_fma_f64 v[58:59], v[18:19], s[26:27], v[62:63]
	v_add_f64 v[60:61], v[101:102], v[74:75]
	v_add_f64 v[68:69], v[103:104], v[46:47]
	v_fma_f64 v[46:47], v[16:17], s[16:17], -v[54:55]
	v_add_f64 v[54:55], v[107:108], v[105:106]
	v_fma_f64 v[74:75], v[18:19], s[6:7], v[30:31]
	v_add_f64 v[38:39], v[32:33], v[38:39]
	v_fma_f64 v[30:31], v[18:19], s[20:21], v[30:31]
	v_fma_f64 v[62:63], v[18:19], s[4:5], v[62:63]
	;; [unrolled: 1-line block ×3, first 2 shown]
	v_add_f64 v[105:106], v[20:21], v[22:23]
	v_add_f64 v[107:108], v[24:25], v[14:15]
	v_fma_f64 v[76:77], v[16:17], s[36:37], -v[76:77]
	v_fma_f64 v[78:79], v[18:19], s[34:35], v[78:79]
	v_add_f64 v[70:71], v[109:110], v[94:95]
	v_fma_f64 v[72:73], v[16:17], s[12:13], v[34:35]
	v_fma_f64 v[92:93], v[16:17], s[24:25], -v[92:93]
	v_fma_f64 v[119:120], v[18:19], s[28:29], v[147:148]
	v_add_f64 v[94:95], v[36:37], v[12:13]
	v_fma_f64 v[101:102], v[16:17], s[12:13], -v[34:35]
	v_and_b32_e32 v22, 0xff, v64
	v_add_f64 v[16:17], v[88:89], v[84:85]
	v_add_f64 v[18:19], v[141:142], v[86:87]
	v_add_f64 v[26:27], v[52:53], v[98:99]
	v_add_f64 v[24:25], v[42:43], v[96:97]
	v_mul_lo_u16 v52, 0x4f, v22
	v_add_f64 v[34:35], v[58:59], v[48:49]
	v_add_f64 v[36:37], v[46:47], v[60:61]
	;; [unrolled: 1-line block ×4, first 2 shown]
	v_lshrrev_b16 v65, 10, v52
	v_add_f64 v[38:39], v[62:63], v[68:69]
	v_add_f64 v[30:31], v[103:104], v[50:51]
	;; [unrolled: 1-line block ×9, first 2 shown]
	v_mad_u32_u24 v52, 0xc0, v64, v100
	v_mul_lo_u16 v53, v65, 13
	v_add_f64 v[12:13], v[92:93], v[90:91]
	v_add_f64 v[14:15], v[119:120], v[149:150]
	v_add_f64 v[44:45], v[101:102], v[94:95]
	s_barrier
	buffer_gl0_inv
	ds_write_b128 v52, v[4:7]
	ds_write_b128 v52, v[0:3] offset:16
	ds_write_b128 v52, v[8:11] offset:32
	;; [unrolled: 1-line block ×3, first 2 shown]
	v_sub_nc_u16 v101, v64, v53
	v_mov_b32_e32 v0, 12
	ds_write_b128 v52, v[24:27] offset:64
	ds_write_b128 v52, v[32:35] offset:80
	;; [unrolled: 1-line block ×4, first 2 shown]
	v_mul_u32_u24_sdwa v0, v101, v0 dst_sel:DWORD dst_unused:UNUSED_PAD src0_sel:BYTE_0 src1_sel:DWORD
	ds_write_b128 v52, v[36:39] offset:128
	ds_write_b128 v52, v[28:31] offset:144
	;; [unrolled: 1-line block ×5, first 2 shown]
	s_waitcnt lgkmcnt(0)
	s_barrier
	v_lshlrev_b32_e32 v0, 4, v0
	buffer_gl0_inv
	s_clause 0xb
	global_load_dwordx4 v[6:9], v0, s[8:9]
	global_load_dwordx4 v[10:13], v0, s[8:9] offset:176
	global_load_dwordx4 v[14:17], v0, s[8:9] offset:16
	;; [unrolled: 1-line block ×11, first 2 shown]
	ds_read_b128 v[54:57], v100 offset:832
	ds_read_b128 v[58:61], v100 offset:9984
	ds_read_b128 v[68:71], v100 offset:1664
	ds_read_b128 v[72:75], v100 offset:9152
	ds_read_b128 v[76:79], v100 offset:2496
	ds_read_b128 v[84:87], v100 offset:3328
	ds_read_b128 v[92:95], v100 offset:4160
	ds_read_b128 v[96:99], v100 offset:8320
	ds_read_b128 v[102:105], v100 offset:4992
	ds_read_b128 v[106:109], v100 offset:5824
	ds_read_b128 v[110:113], v100 offset:7488
	ds_read_b128 v[114:117], v100 offset:6656
	ds_read_b128 v[0:3], v100
	s_waitcnt vmcnt(0) lgkmcnt(0)
	s_barrier
	buffer_gl0_inv
	v_mul_f64 v[4:5], v[54:55], v[8:9]
	v_mul_f64 v[62:63], v[58:59], v[12:13]
	;; [unrolled: 1-line block ×22, first 2 shown]
	v_fma_f64 v[56:57], v[56:57], v[6:7], -v[4:5]
	v_fma_f64 v[4:5], v[60:61], v[10:11], -v[62:63]
	v_fma_f64 v[134:135], v[54:55], v[6:7], v[8:9]
	v_fma_f64 v[88:89], v[70:71], v[14:15], -v[80:81]
	v_fma_f64 v[6:7], v[58:59], v[10:11], v[12:13]
	v_fma_f64 v[8:9], v[74:75], v[18:19], -v[82:83]
	v_mul_f64 v[44:45], v[112:113], v[44:45]
	v_mul_f64 v[48:49], v[106:107], v[48:49]
	v_fma_f64 v[54:55], v[102:103], v[38:39], v[126:127]
	v_fma_f64 v[90:91], v[68:69], v[14:15], v[16:17]
	;; [unrolled: 1-line block ×5, first 2 shown]
	v_fma_f64 v[70:71], v[86:87], v[26:27], -v[28:29]
	v_fma_f64 v[12:13], v[98:99], v[34:35], -v[124:125]
	v_fma_f64 v[14:15], v[96:97], v[34:35], v[36:37]
	v_fma_f64 v[60:61], v[94:95], v[30:31], -v[32:33]
	v_fma_f64 v[36:37], v[104:105], v[38:39], -v[40:41]
	v_fma_f64 v[34:35], v[106:107], v[46:47], v[130:131]
	v_fma_f64 v[26:27], v[114:115], v[50:51], v[52:53]
	v_fma_f64 v[80:81], v[78:79], v[22:23], -v[24:25]
	v_fma_f64 v[62:63], v[92:93], v[30:31], v[122:123]
	v_add_f64 v[96:97], v[2:3], v[56:57]
	v_add_f64 v[102:103], v[56:57], -v[4:5]
	v_add_f64 v[104:105], v[56:57], v[4:5]
	v_add_f64 v[98:99], v[0:1], v[134:135]
	;; [unrolled: 1-line block ×3, first 2 shown]
	v_add_f64 v[52:53], v[88:89], -v[8:9]
	v_fma_f64 v[16:17], v[112:113], v[42:43], -v[128:129]
	v_fma_f64 v[18:19], v[110:111], v[42:43], v[44:45]
	v_fma_f64 v[20:21], v[116:117], v[50:51], -v[132:133]
	v_fma_f64 v[32:33], v[108:109], v[46:47], -v[48:49]
	v_add_f64 v[92:93], v[134:135], -v[6:7]
	v_add_f64 v[50:51], v[88:89], v[8:9]
	v_add_f64 v[24:25], v[90:91], v[10:11]
	v_add_f64 v[22:23], v[90:91], -v[10:11]
	v_add_f64 v[30:31], v[82:83], v[14:15]
	v_add_f64 v[28:29], v[82:83], -v[14:15]
	v_add_f64 v[74:75], v[54:55], v[34:35]
	v_add_f64 v[68:69], v[54:55], -v[34:35]
	v_add_f64 v[44:45], v[80:81], -v[12:13]
	v_add_f64 v[38:39], v[80:81], v[12:13]
	v_add_f64 v[88:89], v[96:97], v[88:89]
	v_mul_f64 v[106:107], v[102:103], s[22:23]
	v_mul_f64 v[108:109], v[104:105], s[24:25]
	;; [unrolled: 1-line block ×10, first 2 shown]
	v_add_f64 v[90:91], v[98:99], v[90:91]
	v_mul_f64 v[116:117], v[50:51], s[14:15]
	v_mul_f64 v[126:127], v[104:105], s[16:17]
	;; [unrolled: 1-line block ×8, first 2 shown]
	v_add_f64 v[46:47], v[70:71], -v[16:17]
	v_add_f64 v[40:41], v[76:77], v[18:19]
	v_add_f64 v[80:81], v[88:89], v[80:81]
	v_fma_f64 v[166:167], v[94:95], s[24:25], v[106:107]
	v_fma_f64 v[168:169], v[92:93], s[28:29], v[108:109]
	v_fma_f64 v[106:107], v[94:95], s[24:25], -v[106:107]
	v_fma_f64 v[170:171], v[94:95], s[14:15], v[110:111]
	v_fma_f64 v[110:111], v[94:95], s[14:15], -v[110:111]
	v_fma_f64 v[172:173], v[94:95], s[12:13], v[112:113]
	v_fma_f64 v[174:175], v[24:25], s[14:15], v[114:115]
	v_fma_f64 v[112:113], v[94:95], s[12:13], -v[112:113]
	v_fma_f64 v[178:179], v[94:95], s[16:17], v[118:119]
	v_fma_f64 v[118:119], v[94:95], s[16:17], -v[118:119]
	v_fma_f64 v[180:181], v[94:95], s[38:39], v[120:121]
	v_add_f64 v[82:83], v[90:91], v[82:83]
	v_fma_f64 v[90:91], v[92:93], s[22:23], v[108:109]
	v_fma_f64 v[108:109], v[94:95], s[38:39], -v[120:121]
	v_fma_f64 v[120:121], v[92:93], s[18:19], v[122:123]
	v_fma_f64 v[182:183], v[94:95], s[36:37], v[102:103]
	v_fma_f64 v[94:95], v[94:95], s[36:37], -v[102:103]
	v_fma_f64 v[88:89], v[92:93], s[20:21], v[124:125]
	v_fma_f64 v[102:103], v[92:93], s[6:7], v[124:125]
	v_add_f64 v[48:49], v[70:71], v[16:17]
	v_add_f64 v[42:43], v[76:77], -v[18:19]
	v_mul_f64 v[130:131], v[44:45], s[6:7]
	v_add_f64 v[166:167], v[0:1], v[166:167]
	v_mul_f64 v[132:133], v[38:39], s[12:13]
	v_mul_f64 v[150:151], v[44:45], s[34:35]
	;; [unrolled: 1-line block ×4, first 2 shown]
	v_fma_f64 v[176:177], v[22:23], s[18:19], v[116:117]
	v_fma_f64 v[122:123], v[92:93], s[10:11], v[122:123]
	;; [unrolled: 1-line block ×6, first 2 shown]
	v_add_f64 v[168:169], v[2:3], v[168:169]
	v_fma_f64 v[186:187], v[92:93], s[30:31], v[104:105]
	v_fma_f64 v[92:93], v[92:93], s[34:35], v[104:105]
	v_fma_f64 v[104:105], v[24:25], s[14:15], -v[114:115]
	v_fma_f64 v[114:115], v[22:23], s[10:11], v[116:117]
	v_fma_f64 v[116:117], v[24:25], s[16:17], v[146:147]
	v_add_f64 v[106:107], v[0:1], v[106:107]
	v_add_f64 v[76:77], v[82:83], v[76:77]
	v_fma_f64 v[82:83], v[22:23], s[26:27], v[148:149]
	v_add_f64 v[90:91], v[2:3], v[90:91]
	v_fma_f64 v[146:147], v[24:25], s[16:17], -v[146:147]
	v_add_f64 v[170:171], v[0:1], v[170:171]
	v_add_f64 v[120:121], v[2:3], v[120:121]
	;; [unrolled: 1-line block ×3, first 2 shown]
	v_fma_f64 v[80:81], v[24:25], s[36:37], v[96:97]
	v_add_f64 v[110:111], v[0:1], v[110:111]
	v_add_f64 v[166:167], v[174:175], v[166:167]
	v_fma_f64 v[174:175], v[22:23], s[30:31], v[160:161]
	v_add_f64 v[172:173], v[0:1], v[172:173]
	v_add_f64 v[88:89], v[2:3], v[88:89]
	v_fma_f64 v[96:97], v[24:25], s[36:37], -v[96:97]
	v_fma_f64 v[160:161], v[22:23], s[34:35], v[160:161]
	v_add_f64 v[112:113], v[0:1], v[112:113]
	v_add_f64 v[102:103], v[2:3], v[102:103]
	v_add_f64 v[56:57], v[60:61], -v[20:21]
	v_add_f64 v[58:59], v[60:61], v[20:21]
	v_mul_f64 v[134:135], v[46:47], s[4:5]
	v_mul_f64 v[136:137], v[48:49], s[16:17]
	;; [unrolled: 1-line block ×3, first 2 shown]
	v_fma_f64 v[148:149], v[22:23], s[4:5], v[148:149]
	v_add_f64 v[122:123], v[2:3], v[122:123]
	v_add_f64 v[168:169], v[176:177], v[168:169]
	;; [unrolled: 1-line block ×4, first 2 shown]
	v_fma_f64 v[114:115], v[22:23], s[0:1], v[164:165]
	v_add_f64 v[124:125], v[2:3], v[124:125]
	v_add_f64 v[116:117], v[116:117], v[170:171]
	v_mul_f64 v[170:171], v[44:45], s[26:27]
	v_add_f64 v[82:83], v[82:83], v[120:121]
	v_mul_f64 v[120:121], v[38:39], s[16:17]
	v_add_f64 v[110:111], v[146:147], v[110:111]
	v_fma_f64 v[146:147], v[30:31], s[12:13], v[130:131]
	v_add_f64 v[80:81], v[80:81], v[172:173]
	v_fma_f64 v[172:173], v[28:29], s[20:21], v[132:133]
	v_add_f64 v[88:89], v[174:175], v[88:89]
	v_mul_f64 v[174:175], v[38:39], s[24:25]
	v_fma_f64 v[130:131], v[30:31], s[12:13], -v[130:131]
	v_add_f64 v[96:97], v[96:97], v[112:113]
	v_fma_f64 v[112:113], v[30:31], s[36:37], v[150:151]
	v_add_f64 v[102:103], v[160:161], v[102:103]
	v_fma_f64 v[160:161], v[28:29], s[30:31], v[152:153]
	v_fma_f64 v[150:151], v[30:31], s[36:37], -v[150:151]
	v_add_f64 v[72:73], v[62:63], v[26:27]
	v_add_f64 v[78:79], v[62:63], -v[26:27]
	v_add_f64 v[84:85], v[36:37], -v[32:33]
	v_add_f64 v[86:87], v[36:37], v[32:33]
	v_mul_f64 v[138:139], v[56:57], s[0:1]
	v_mul_f64 v[140:141], v[58:59], s[38:39]
	;; [unrolled: 1-line block ×4, first 2 shown]
	v_fma_f64 v[106:107], v[24:25], s[38:39], v[162:163]
	v_add_f64 v[178:179], v[0:1], v[178:179]
	v_add_f64 v[122:123], v[148:149], v[122:123]
	v_mul_f64 v[148:149], v[44:45], s[28:29]
	v_fma_f64 v[132:133], v[28:29], s[6:7], v[132:133]
	v_add_f64 v[114:115], v[114:115], v[124:125]
	v_fma_f64 v[124:125], v[30:31], s[16:17], v[170:171]
	v_add_f64 v[60:61], v[70:71], v[60:61]
	;; [unrolled: 2-line block ×3, first 2 shown]
	v_mul_f64 v[166:167], v[48:49], s[24:25]
	v_fma_f64 v[170:171], v[30:31], s[16:17], -v[170:171]
	v_fma_f64 v[120:121], v[28:29], s[26:27], v[120:121]
	v_add_f64 v[168:169], v[172:173], v[168:169]
	v_add_f64 v[104:105], v[130:131], v[104:105]
	v_fma_f64 v[130:131], v[28:29], s[22:23], v[174:175]
	v_add_f64 v[82:83], v[160:161], v[82:83]
	v_fma_f64 v[160:161], v[40:41], s[16:17], v[134:135]
	;; [unrolled: 2-line block ×3, first 2 shown]
	v_fma_f64 v[134:135], v[40:41], s[16:17], -v[134:135]
	v_mul_f64 v[142:143], v[84:85], s[34:35]
	v_mul_f64 v[144:145], v[86:87], s[36:37]
	;; [unrolled: 1-line block ×4, first 2 shown]
	v_add_f64 v[106:107], v[106:107], v[178:179]
	v_fma_f64 v[152:153], v[28:29], s[34:35], v[152:153]
	v_add_f64 v[62:63], v[76:77], v[62:63]
	v_mul_f64 v[76:77], v[46:47], s[28:29]
	v_fma_f64 v[172:173], v[30:31], s[24:25], v[148:149]
	v_add_f64 v[90:91], v[132:133], v[90:91]
	v_mul_f64 v[132:133], v[46:47], s[6:7]
	v_add_f64 v[112:113], v[112:113], v[116:117]
	v_mul_f64 v[116:117], v[48:49], s[12:13]
	v_fma_f64 v[136:137], v[42:43], s[4:5], v[136:137]
	v_add_f64 v[70:71], v[70:71], v[88:89]
	v_add_f64 v[96:97], v[170:171], v[96:97]
	v_fma_f64 v[170:171], v[40:41], s[38:39], v[98:99]
	v_add_f64 v[102:103], v[120:121], v[102:103]
	v_fma_f64 v[120:121], v[42:43], s[0:1], v[154:155]
	v_add_f64 v[114:115], v[130:131], v[114:115]
	v_mul_f64 v[130:131], v[52:53], s[20:21]
	v_fma_f64 v[98:99], v[40:41], s[38:39], -v[98:99]
	v_add_f64 v[146:147], v[160:161], v[146:147]
	v_fma_f64 v[160:161], v[42:43], s[22:23], v[166:167]
	v_add_f64 v[150:151], v[150:151], v[168:169]
	v_mul_f64 v[168:169], v[50:51], s[12:13]
	v_mul_f64 v[188:189], v[52:53], s[28:29]
	;; [unrolled: 1-line block ×3, first 2 shown]
	v_add_f64 v[50:51], v[134:135], v[104:105]
	v_fma_f64 v[52:53], v[72:73], s[38:39], v[138:139]
	v_fma_f64 v[104:105], v[78:79], s[40:41], v[140:141]
	v_mul_f64 v[176:177], v[84:85], s[28:29]
	v_mul_f64 v[178:179], v[86:87], s[24:25]
	v_add_f64 v[122:123], v[152:153], v[122:123]
	v_add_f64 v[80:81], v[124:125], v[80:81]
	v_mul_f64 v[124:125], v[58:59], s[14:15]
	v_mul_f64 v[88:89], v[56:57], s[30:31]
	v_add_f64 v[106:107], v[172:173], v[106:107]
	v_mul_f64 v[172:173], v[58:59], s[36:37]
	v_fma_f64 v[154:155], v[42:43], s[40:41], v[154:155]
	v_add_f64 v[54:55], v[62:63], v[54:55]
	v_fma_f64 v[62:63], v[40:41], s[24:25], v[76:77]
	v_add_f64 v[90:91], v[136:137], v[90:91]
	v_fma_f64 v[134:135], v[72:73], s[38:39], -v[138:139]
	v_fma_f64 v[136:137], v[78:79], s[0:1], v[140:141]
	v_add_f64 v[112:113], v[170:171], v[112:113]
	v_fma_f64 v[138:139], v[74:75], s[36:37], v[142:143]
	v_add_f64 v[82:83], v[120:121], v[82:83]
	v_fma_f64 v[120:121], v[68:69], s[30:31], v[144:145]
	v_fma_f64 v[140:141], v[74:75], s[36:37], -v[142:143]
	v_fma_f64 v[142:143], v[68:69], s[34:35], v[144:145]
	v_add_f64 v[98:99], v[98:99], v[110:111]
	v_fma_f64 v[110:111], v[72:73], s[12:13], v[156:157]
	v_fma_f64 v[144:145], v[78:79], s[6:7], v[158:159]
	v_add_f64 v[70:71], v[160:161], v[70:71]
	v_fma_f64 v[160:161], v[24:25], s[38:39], -v[162:163]
	v_fma_f64 v[162:163], v[42:43], s[28:29], v[166:167]
	v_add_f64 v[52:53], v[52:53], v[146:147]
	v_fma_f64 v[146:147], v[40:41], s[12:13], v[132:133]
	v_add_f64 v[104:105], v[104:105], v[150:151]
	;; [unrolled: 2-line block ×3, first 2 shown]
	v_add_f64 v[122:123], v[154:155], v[122:123]
	v_add_f64 v[62:63], v[62:63], v[80:81]
	v_fma_f64 v[80:81], v[74:75], s[24:25], v[176:177]
	v_fma_f64 v[154:155], v[68:69], s[22:23], v[178:179]
	v_fma_f64 v[76:77], v[40:41], s[24:25], -v[76:77]
	v_add_f64 v[50:51], v[134:135], v[50:51]
	v_add_f64 v[90:91], v[136:137], v[90:91]
	v_fma_f64 v[136:137], v[78:79], s[18:19], v[124:125]
	v_add_f64 v[118:119], v[0:1], v[118:119]
	v_fma_f64 v[124:125], v[78:79], s[10:11], v[124:125]
	v_fma_f64 v[164:165], v[22:23], s[40:41], v[164:165]
	v_add_f64 v[126:127], v[2:3], v[126:127]
	v_add_f64 v[110:111], v[110:111], v[112:113]
	v_fma_f64 v[112:113], v[72:73], s[36:37], v[88:89]
	v_add_f64 v[82:83], v[144:145], v[82:83]
	v_fma_f64 v[144:145], v[78:79], s[34:35], v[172:173]
	v_add_f64 v[102:103], v[162:163], v[102:103]
	v_add_f64 v[54:55], v[54:55], v[34:35]
	;; [unrolled: 1-line block ×3, first 2 shown]
	v_fma_f64 v[148:149], v[30:31], s[24:25], -v[148:149]
	v_add_f64 v[114:115], v[150:151], v[114:115]
	v_add_f64 v[32:33], v[60:61], v[32:33]
	;; [unrolled: 1-line block ×19, first 2 shown]
	v_fma_f64 v[104:105], v[24:25], s[12:13], v[130:131]
	v_add_f64 v[90:91], v[112:113], v[106:107]
	v_fma_f64 v[106:107], v[22:23], s[6:7], v[168:169]
	v_add_f64 v[102:103], v[144:145], v[114:115]
	v_mul_f64 v[110:111], v[44:45], s[10:11]
	v_mul_f64 v[114:115], v[38:39], s[14:15]
	v_fma_f64 v[124:125], v[24:25], s[12:13], -v[130:131]
	v_add_f64 v[112:113], v[164:165], v[126:127]
	v_fma_f64 v[126:127], v[24:25], s[24:25], v[188:189]
	v_add_f64 v[26:27], v[54:55], v[26:27]
	v_fma_f64 v[54:55], v[22:23], s[22:23], v[190:191]
	v_mul_f64 v[44:45], v[44:45], s[0:1]
	v_fma_f64 v[24:25], v[24:25], s[24:25], -v[188:189]
	v_mul_f64 v[38:39], v[38:39], s[38:39]
	v_add_f64 v[20:21], v[32:33], v[20:21]
	v_fma_f64 v[32:33], v[22:23], s[28:29], v[190:191]
	v_fma_f64 v[22:23], v[22:23], s[20:21], v[168:169]
	v_mul_f64 v[152:153], v[56:57], s[10:11]
	v_add_f64 v[118:119], v[148:149], v[118:119]
	v_fma_f64 v[138:139], v[28:29], s[28:29], v[174:175]
	v_fma_f64 v[132:133], v[40:41], s[12:13], -v[132:133]
	v_mul_f64 v[144:145], v[46:47], s[30:31]
	v_add_f64 v[104:105], v[104:105], v[166:167]
	v_mul_f64 v[46:47], v[46:47], s[18:19]
	v_add_f64 v[106:107], v[106:107], v[170:171]
	v_mul_f64 v[80:81], v[84:85], s[0:1]
	v_fma_f64 v[140:141], v[30:31], s[14:15], v[110:111]
	v_fma_f64 v[142:143], v[28:29], s[18:19], v[114:115]
	v_add_f64 v[108:109], v[124:125], v[108:109]
	v_mul_f64 v[124:125], v[48:49], s[36:37]
	v_add_f64 v[96:97], v[126:127], v[96:97]
	v_fma_f64 v[110:111], v[30:31], s[14:15], -v[110:111]
	v_add_f64 v[54:55], v[54:55], v[146:147]
	v_fma_f64 v[146:147], v[30:31], s[38:39], v[44:45]
	v_add_f64 v[24:25], v[24:25], v[94:95]
	v_fma_f64 v[94:95], v[28:29], s[40:41], v[38:39]
	v_mul_f64 v[48:49], v[48:49], s[14:15]
	v_add_f64 v[32:33], v[32:33], v[92:93]
	v_fma_f64 v[30:31], v[30:31], s[38:39], -v[44:45]
	v_fma_f64 v[38:39], v[28:29], s[0:1], v[38:39]
	v_add_f64 v[18:19], v[26:27], v[18:19]
	v_add_f64 v[16:17], v[20:21], v[16:17]
	;; [unrolled: 1-line block ×3, first 2 shown]
	v_fma_f64 v[22:23], v[28:29], s[10:11], v[114:115]
	v_fma_f64 v[134:135], v[72:73], s[14:15], v[152:153]
	v_fma_f64 v[152:153], v[72:73], s[14:15], -v[152:153]
	v_add_f64 v[44:45], v[138:139], v[112:113]
	v_add_f64 v[112:113], v[132:133], v[118:119]
	;; [unrolled: 1-line block ×4, first 2 shown]
	v_fma_f64 v[104:105], v[40:41], s[36:37], v[144:145]
	v_fma_f64 v[106:107], v[42:43], s[34:35], v[124:125]
	v_mul_f64 v[114:115], v[56:57], s[28:29]
	v_mul_f64 v[118:119], v[58:59], s[24:25]
	v_add_f64 v[108:109], v[110:111], v[108:109]
	v_fma_f64 v[110:111], v[40:41], s[36:37], -v[144:145]
	v_add_f64 v[96:97], v[146:147], v[96:97]
	v_add_f64 v[54:55], v[94:95], v[54:55]
	v_fma_f64 v[94:95], v[40:41], s[14:15], v[46:47]
	v_fma_f64 v[128:129], v[42:43], s[10:11], v[48:49]
	v_mul_f64 v[56:57], v[56:57], s[4:5]
	v_mul_f64 v[58:59], v[58:59], s[16:17]
	v_add_f64 v[24:25], v[30:31], v[24:25]
	v_add_f64 v[30:31], v[38:39], v[32:33]
	v_fma_f64 v[32:33], v[40:41], s[14:15], -v[46:47]
	v_fma_f64 v[38:39], v[42:43], s[18:19], v[48:49]
	v_fma_f64 v[40:41], v[42:43], s[6:7], v[116:117]
	v_add_f64 v[14:15], v[18:19], v[14:15]
	v_add_f64 v[18:19], v[22:23], v[20:21]
	v_fma_f64 v[20:21], v[42:43], s[30:31], v[124:125]
	v_add_f64 v[12:13], v[16:17], v[12:13]
	v_add_f64 v[60:61], v[152:153], v[76:77]
	v_mul_f64 v[76:77], v[86:87], s[38:39]
	v_mul_f64 v[126:127], v[84:85], s[18:19]
	;; [unrolled: 1-line block ×3, first 2 shown]
	v_fma_f64 v[46:47], v[72:73], s[36:37], -v[88:89]
	v_add_f64 v[16:17], v[104:105], v[26:27]
	v_add_f64 v[22:23], v[106:107], v[28:29]
	v_fma_f64 v[26:27], v[72:73], s[24:25], v[114:115]
	v_fma_f64 v[28:29], v[78:79], s[22:23], v[118:119]
	v_mul_f64 v[42:43], v[84:85], s[4:5]
	v_mul_f64 v[48:49], v[86:87], s[16:17]
	v_add_f64 v[88:89], v[110:111], v[108:109]
	v_fma_f64 v[104:105], v[72:73], s[24:25], -v[114:115]
	v_add_f64 v[94:95], v[94:95], v[96:97]
	v_add_f64 v[54:55], v[128:129], v[54:55]
	v_fma_f64 v[96:97], v[72:73], s[16:17], v[56:57]
	v_fma_f64 v[106:107], v[78:79], s[26:27], v[58:59]
	v_mul_f64 v[84:85], v[84:85], s[20:21]
	v_mul_f64 v[86:87], v[86:87], s[12:13]
	v_add_f64 v[24:25], v[32:33], v[24:25]
	v_add_f64 v[30:31], v[38:39], v[30:31]
	v_fma_f64 v[32:33], v[72:73], s[16:17], -v[56:57]
	v_fma_f64 v[38:39], v[78:79], s[4:5], v[58:59]
	v_add_f64 v[40:41], v[40:41], v[44:45]
	v_fma_f64 v[44:45], v[78:79], s[30:31], v[172:173]
	v_add_f64 v[18:19], v[20:21], v[18:19]
	v_fma_f64 v[20:21], v[78:79], s[28:29], v[118:119]
	v_fma_f64 v[156:157], v[72:73], s[12:13], -v[156:157]
	v_fma_f64 v[158:159], v[78:79], s[20:21], v[158:159]
	v_add_f64 v[78:79], v[14:15], v[10:11]
	v_add_f64 v[108:109], v[12:13], v[8:9]
	;; [unrolled: 1-line block ×4, first 2 shown]
	v_fma_f64 v[134:135], v[74:75], s[38:39], v[80:81]
	v_fma_f64 v[136:137], v[68:69], s[40:41], v[76:77]
	;; [unrolled: 1-line block ×4, first 2 shown]
	v_add_f64 v[46:47], v[46:47], v[112:113]
	v_add_f64 v[26:27], v[26:27], v[16:17]
	;; [unrolled: 1-line block ×3, first 2 shown]
	v_fma_f64 v[112:113], v[74:75], s[16:17], v[42:43]
	v_fma_f64 v[114:115], v[68:69], s[26:27], v[48:49]
	v_add_f64 v[88:89], v[104:105], v[88:89]
	v_fma_f64 v[42:43], v[74:75], s[16:17], -v[42:43]
	v_add_f64 v[94:95], v[96:97], v[94:95]
	v_add_f64 v[54:55], v[106:107], v[54:55]
	v_fma_f64 v[96:97], v[74:75], s[12:13], v[84:85]
	v_fma_f64 v[104:105], v[68:69], s[6:7], v[86:87]
	v_fma_f64 v[120:121], v[74:75], s[24:25], -v[176:177]
	v_fma_f64 v[80:81], v[74:75], s[38:39], -v[80:81]
	;; [unrolled: 1-line block ×3, first 2 shown]
	v_add_f64 v[32:33], v[32:33], v[24:25]
	v_add_f64 v[106:107], v[38:39], v[30:31]
	v_fma_f64 v[74:75], v[74:75], s[12:13], -v[84:85]
	v_fma_f64 v[84:85], v[68:69], s[20:21], v[86:87]
	v_add_f64 v[86:87], v[44:45], v[40:41]
	v_add_f64 v[18:19], v[20:21], v[18:19]
	v_fma_f64 v[40:41], v[68:69], s[4:5], v[48:49]
	v_fma_f64 v[92:93], v[68:69], s[18:19], v[92:93]
	;; [unrolled: 1-line block ×4, first 2 shown]
	v_add_f64 v[98:99], v[156:157], v[98:99]
	v_add_f64 v[122:123], v[158:159], v[122:123]
	;; [unrolled: 1-line block ×16, first 2 shown]
	v_mov_b32_e32 v32, 0xa90
	v_mov_b32_e32 v33, 4
	v_add_f64 v[40:41], v[40:41], v[18:19]
	v_add_f64 v[26:27], v[92:93], v[86:87]
	;; [unrolled: 1-line block ×6, first 2 shown]
	v_mul_u32_u24_sdwa v32, v65, v32 dst_sel:DWORD dst_unused:UNUSED_PAD src0_sel:WORD_0 src1_sel:DWORD
	v_lshlrev_b32_sdwa v33, v33, v101 dst_sel:DWORD dst_unused:UNUSED_PAD src0_sel:DWORD src1_sel:BYTE_0
	v_cmp_gt_u32_e64 s0, 13, v64
	v_add3_u32 v32, 0, v32, v33
	ds_write_b128 v32, v[28:31]
	ds_write_b128 v32, v[34:37] offset:208
	ds_write_b128 v32, v[50:53] offset:416
	;; [unrolled: 1-line block ×12, first 2 shown]
	s_waitcnt lgkmcnt(0)
	s_barrier
	buffer_gl0_inv
	ds_read_b128 v[16:19], v100
	ds_read_b128 v[20:23], v100 offset:832
	ds_read_b128 v[44:47], v100 offset:5408
	;; [unrolled: 1-line block ×11, first 2 shown]
                                        ; implicit-def: $vgpr6_vgpr7
                                        ; implicit-def: $vgpr10_vgpr11
                                        ; implicit-def: $vgpr14_vgpr15
	s_and_saveexec_b32 s1, s0
	s_cbranch_execz .LBB0_21
; %bb.20:
	ds_read_b128 v[0:3], v100 offset:2496
	ds_read_b128 v[4:7], v100 offset:5200
	;; [unrolled: 1-line block ×4, first 2 shown]
.LBB0_21:
	s_or_b32 exec_lo, exec_lo, s1
	v_mul_u32_u24_e32 v65, 3, v64
	v_lshlrev_b32_e32 v65, 4, v65
	v_add_co_u32 v65, s1, s8, v65
	v_add_co_ci_u32_e64 v90, null, s9, 0, s1
	v_add_co_u32 v72, s1, 0x9c0, v65
	v_add_co_ci_u32_e64 v73, s1, 0, v90, s1
	v_add_co_u32 v80, s1, 0x800, v65
	v_add_co_ci_u32_e64 v81, s1, 0, v90, s1
	;; [unrolled: 2-line block ×6, first 2 shown]
	s_clause 0x8
	global_load_dwordx4 v[68:71], v[72:73], off offset:32
	global_load_dwordx4 v[72:75], v[72:73], off offset:16
	;; [unrolled: 1-line block ×9, first 2 shown]
	s_waitcnt vmcnt(0) lgkmcnt(0)
	s_barrier
	buffer_gl0_inv
	v_mul_f64 v[109:110], v[62:63], v[70:71]
	v_mul_f64 v[107:108], v[46:47], v[74:75]
	;; [unrolled: 1-line block ×18, first 2 shown]
	v_fma_f64 v[60:61], v[60:61], v[68:69], v[109:110]
	v_fma_f64 v[44:45], v[44:45], v[72:73], v[107:108]
	v_fma_f64 v[46:47], v[46:47], v[72:73], -v[74:75]
	v_fma_f64 v[56:57], v[56:57], v[80:81], v[105:106]
	v_fma_f64 v[58:59], v[58:59], v[80:81], -v[82:83]
	v_fma_f64 v[62:63], v[62:63], v[68:69], -v[70:71]
	v_fma_f64 v[48:49], v[48:49], v[76:77], v[111:112]
	v_fma_f64 v[50:51], v[50:51], v[76:77], -v[78:79]
	v_fma_f64 v[28:29], v[28:29], v[84:85], v[113:114]
	;; [unrolled: 2-line block ×6, first 2 shown]
	v_fma_f64 v[42:43], v[42:43], v[101:102], -v[103:104]
	v_add_f64 v[44:45], v[16:17], -v[44:45]
	v_add_f64 v[46:47], v[18:19], -v[46:47]
	;; [unrolled: 1-line block ×12, first 2 shown]
	v_fma_f64 v[16:17], v[16:17], 2.0, -v[44:45]
	v_fma_f64 v[72:73], v[18:19], 2.0, -v[46:47]
	v_fma_f64 v[40:41], v[56:57], 2.0, -v[60:61]
	v_fma_f64 v[42:43], v[58:59], 2.0, -v[62:63]
	v_add_f64 v[18:19], v[44:45], v[62:63]
	v_fma_f64 v[58:59], v[20:21], 2.0, -v[68:69]
	v_fma_f64 v[74:75], v[22:23], 2.0, -v[70:71]
	;; [unrolled: 1-line block ×4, first 2 shown]
	v_add_f64 v[20:21], v[46:47], -v[60:61]
	v_add_f64 v[22:23], v[68:69], v[30:31]
	v_fma_f64 v[76:77], v[24:25], 2.0, -v[52:53]
	v_fma_f64 v[78:79], v[26:27], 2.0, -v[54:55]
	;; [unrolled: 1-line block ×4, first 2 shown]
	v_add_f64 v[24:25], v[70:71], -v[28:29]
	v_add_f64 v[26:27], v[52:53], v[38:39]
	v_add_f64 v[28:29], v[54:55], -v[36:37]
	v_add_f64 v[30:31], v[16:17], -v[40:41]
	;; [unrolled: 1-line block ×3, first 2 shown]
	v_fma_f64 v[42:43], v[44:45], 2.0, -v[18:19]
	v_add_f64 v[34:35], v[58:59], -v[48:49]
	v_add_f64 v[36:37], v[74:75], -v[50:51]
	v_fma_f64 v[44:45], v[46:47], 2.0, -v[20:21]
	v_fma_f64 v[46:47], v[68:69], 2.0, -v[22:23]
	v_add_f64 v[38:39], v[76:77], -v[56:57]
	v_add_f64 v[40:41], v[78:79], -v[80:81]
	v_fma_f64 v[48:49], v[70:71], 2.0, -v[24:25]
	v_fma_f64 v[50:51], v[52:53], 2.0, -v[26:27]
	;; [unrolled: 1-line block ×4, first 2 shown]
	v_mov_b32_e32 v17, 0
	v_fma_f64 v[56:57], v[72:73], 2.0, -v[32:33]
	v_fma_f64 v[58:59], v[58:59], 2.0, -v[34:35]
	;; [unrolled: 1-line block ×5, first 2 shown]
	ds_write_b128 v100, v[18:21] offset:8112
	ds_write_b128 v100, v[22:25] offset:8944
	;; [unrolled: 1-line block ×8, first 2 shown]
	ds_write_b128 v100, v[54:57]
	ds_write_b128 v100, v[58:61] offset:832
	ds_write_b128 v100, v[68:71] offset:1664
	;; [unrolled: 1-line block ×3, first 2 shown]
	s_and_saveexec_b32 s1, s0
	s_cbranch_execz .LBB0_23
; %bb.22:
	v_add_nc_u32_e32 v16, 0x9c, v64
	v_add_nc_u32_e32 v18, -13, v64
	v_cndmask_b32_e64 v16, v18, v16, s0
	v_mul_i32_i24_e32 v16, 3, v16
	v_lshlrev_b64 v[16:17], 4, v[16:17]
	v_add_co_u32 v16, s0, s8, v16
	v_add_co_ci_u32_e64 v17, s0, s9, v17, s0
	v_add_co_u32 v24, s0, 0x9c0, v16
	v_add_co_ci_u32_e64 v25, s0, 0, v17, s0
	;; [unrolled: 2-line block ×3, first 2 shown]
	s_clause 0x2
	global_load_dwordx4 v[16:19], v[24:25], off offset:16
	global_load_dwordx4 v[20:23], v[20:21], off offset:448
	;; [unrolled: 1-line block ×3, first 2 shown]
	s_waitcnt vmcnt(2)
	v_mul_f64 v[28:29], v[8:9], v[18:19]
	s_waitcnt vmcnt(1)
	v_mul_f64 v[30:31], v[6:7], v[22:23]
	v_mul_f64 v[22:23], v[4:5], v[22:23]
	s_waitcnt vmcnt(0)
	v_mul_f64 v[32:33], v[12:13], v[26:27]
	v_mul_f64 v[18:19], v[10:11], v[18:19]
	;; [unrolled: 1-line block ×3, first 2 shown]
	v_fma_f64 v[10:11], v[10:11], v[16:17], -v[28:29]
	v_fma_f64 v[4:5], v[4:5], v[20:21], v[30:31]
	v_fma_f64 v[6:7], v[6:7], v[20:21], -v[22:23]
	v_fma_f64 v[14:15], v[14:15], v[24:25], -v[32:33]
	v_fma_f64 v[8:9], v[8:9], v[16:17], v[18:19]
	v_fma_f64 v[12:13], v[12:13], v[24:25], v[26:27]
	v_add_f64 v[10:11], v[2:3], -v[10:11]
	v_add_f64 v[14:15], v[6:7], -v[14:15]
	;; [unrolled: 1-line block ×4, first 2 shown]
	v_fma_f64 v[16:17], v[2:3], 2.0, -v[10:11]
	v_fma_f64 v[6:7], v[6:7], 2.0, -v[14:15]
	;; [unrolled: 1-line block ×4, first 2 shown]
	v_add_f64 v[2:3], v[10:11], -v[12:13]
	v_add_f64 v[0:1], v[8:9], v[14:15]
	v_add_f64 v[6:7], v[16:17], -v[6:7]
	v_add_f64 v[4:5], v[18:19], -v[4:5]
	v_fma_f64 v[10:11], v[10:11], 2.0, -v[2:3]
	v_fma_f64 v[8:9], v[8:9], 2.0, -v[0:1]
	;; [unrolled: 1-line block ×4, first 2 shown]
	ds_write_b128 v100, v[8:11] offset:5200
	ds_write_b128 v100, v[4:7] offset:7904
	;; [unrolled: 1-line block ×4, first 2 shown]
.LBB0_23:
	s_or_b32 exec_lo, exec_lo, s1
	s_waitcnt lgkmcnt(0)
	s_barrier
	buffer_gl0_inv
	s_and_saveexec_b32 s0, vcc_lo
	s_cbranch_execz .LBB0_25
; %bb.24:
	v_mov_b32_e32 v65, 0
	v_add_co_u32 v30, vcc_lo, s2, v66
	v_lshl_add_u32 v28, v64, 4, 0
	v_add_co_ci_u32_e32 v31, vcc_lo, s3, v67, vcc_lo
	v_lshlrev_b64 v[0:1], 4, v[64:65]
	v_add_nc_u32_e32 v8, 52, v64
	v_mov_b32_e32 v9, v65
	v_add_nc_u32_e32 v10, 0x68, v64
	v_mov_b32_e32 v11, v65
	v_add_nc_u32_e32 v22, 0x9c, v64
	v_add_co_u32 v16, vcc_lo, v30, v0
	v_add_co_ci_u32_e32 v17, vcc_lo, v31, v1, vcc_lo
	ds_read_b128 v[0:3], v28
	ds_read_b128 v[4:7], v28 offset:832
	v_lshlrev_b64 v[18:19], 4, v[8:9]
	v_lshlrev_b64 v[20:21], 4, v[10:11]
	ds_read_b128 v[8:11], v28 offset:1664
	ds_read_b128 v[12:15], v28 offset:2496
	v_mov_b32_e32 v23, v65
	v_add_nc_u32_e32 v24, 0xd0, v64
	v_mov_b32_e32 v25, v65
	v_add_co_u32 v18, vcc_lo, v30, v18
	v_lshlrev_b64 v[22:23], 4, v[22:23]
	v_add_co_ci_u32_e32 v19, vcc_lo, v31, v19, vcc_lo
	v_add_co_u32 v20, vcc_lo, v30, v20
	v_add_co_ci_u32_e32 v21, vcc_lo, v31, v21, vcc_lo
	v_add_co_u32 v22, vcc_lo, v30, v22
	v_add_co_ci_u32_e32 v23, vcc_lo, v31, v23, vcc_lo
	s_waitcnt lgkmcnt(3)
	global_store_dwordx4 v[16:17], v[0:3], off
	s_waitcnt lgkmcnt(2)
	global_store_dwordx4 v[18:19], v[4:7], off
	;; [unrolled: 2-line block ×4, first 2 shown]
	v_lshlrev_b64 v[0:1], 4, v[24:25]
	v_add_nc_u32_e32 v8, 0x104, v64
	v_mov_b32_e32 v9, v65
	v_add_nc_u32_e32 v10, 0x138, v64
	v_mov_b32_e32 v11, v65
	v_add_nc_u32_e32 v22, 0x16c, v64
	v_add_co_u32 v16, vcc_lo, v30, v0
	v_add_co_ci_u32_e32 v17, vcc_lo, v31, v1, vcc_lo
	ds_read_b128 v[0:3], v28 offset:3328
	ds_read_b128 v[4:7], v28 offset:4160
	v_lshlrev_b64 v[18:19], 4, v[8:9]
	v_lshlrev_b64 v[20:21], 4, v[10:11]
	ds_read_b128 v[8:11], v28 offset:4992
	ds_read_b128 v[12:15], v28 offset:5824
	v_mov_b32_e32 v23, v65
	v_add_nc_u32_e32 v24, 0x1a0, v64
	v_add_co_u32 v18, vcc_lo, v30, v18
	v_lshlrev_b64 v[22:23], 4, v[22:23]
	v_add_co_ci_u32_e32 v19, vcc_lo, v31, v19, vcc_lo
	v_add_co_u32 v20, vcc_lo, v30, v20
	v_add_co_ci_u32_e32 v21, vcc_lo, v31, v21, vcc_lo
	v_add_co_u32 v22, vcc_lo, v30, v22
	s_waitcnt lgkmcnt(3)
	global_store_dwordx4 v[16:17], v[0:3], off
	s_waitcnt lgkmcnt(2)
	global_store_dwordx4 v[18:19], v[4:7], off
	v_add_nc_u32_e32 v2, 0x1d4, v64
	v_mov_b32_e32 v3, v65
	v_add_co_ci_u32_e32 v23, vcc_lo, v31, v23, vcc_lo
	v_lshlrev_b64 v[0:1], 4, v[24:25]
	s_waitcnt lgkmcnt(1)
	global_store_dwordx4 v[20:21], v[8:11], off
	s_waitcnt lgkmcnt(0)
	global_store_dwordx4 v[22:23], v[12:15], off
	v_lshlrev_b64 v[8:9], 4, v[2:3]
	v_add_nc_u32_e32 v10, 0x208, v64
	v_mov_b32_e32 v11, v65
	v_add_co_u32 v20, vcc_lo, v30, v0
	v_add_co_ci_u32_e32 v21, vcc_lo, v31, v1, vcc_lo
	v_add_co_u32 v22, vcc_lo, v30, v8
	ds_read_b128 v[0:3], v28 offset:6656
	ds_read_b128 v[4:7], v28 offset:7488
	v_add_co_ci_u32_e32 v23, vcc_lo, v31, v9, vcc_lo
	v_lshlrev_b64 v[26:27], 4, v[10:11]
	ds_read_b128 v[8:11], v28 offset:8320
	ds_read_b128 v[12:15], v28 offset:9152
	ds_read_b128 v[16:19], v28 offset:9984
	v_add_nc_u32_e32 v24, 0x23c, v64
	v_add_nc_u32_e32 v64, 0x270, v64
	v_add_co_u32 v26, vcc_lo, v30, v26
	v_lshlrev_b64 v[24:25], 4, v[24:25]
	v_lshlrev_b64 v[28:29], 4, v[64:65]
	v_add_co_ci_u32_e32 v27, vcc_lo, v31, v27, vcc_lo
	v_add_co_u32 v24, vcc_lo, v30, v24
	v_add_co_ci_u32_e32 v25, vcc_lo, v31, v25, vcc_lo
	v_add_co_u32 v28, vcc_lo, v30, v28
	v_add_co_ci_u32_e32 v29, vcc_lo, v31, v29, vcc_lo
	s_waitcnt lgkmcnt(4)
	global_store_dwordx4 v[20:21], v[0:3], off
	s_waitcnt lgkmcnt(3)
	global_store_dwordx4 v[22:23], v[4:7], off
	;; [unrolled: 2-line block ×5, first 2 shown]
.LBB0_25:
	s_endpgm
	.section	.rodata,"a",@progbits
	.p2align	6, 0x0
	.amdhsa_kernel fft_rtc_back_len676_factors_13_13_4_wgs_52_tpt_52_dp_ip_CI_unitstride_sbrr_C2R_dirReg
		.amdhsa_group_segment_fixed_size 0
		.amdhsa_private_segment_fixed_size 0
		.amdhsa_kernarg_size 88
		.amdhsa_user_sgpr_count 6
		.amdhsa_user_sgpr_private_segment_buffer 1
		.amdhsa_user_sgpr_dispatch_ptr 0
		.amdhsa_user_sgpr_queue_ptr 0
		.amdhsa_user_sgpr_kernarg_segment_ptr 1
		.amdhsa_user_sgpr_dispatch_id 0
		.amdhsa_user_sgpr_flat_scratch_init 0
		.amdhsa_user_sgpr_private_segment_size 0
		.amdhsa_wavefront_size32 1
		.amdhsa_uses_dynamic_stack 0
		.amdhsa_system_sgpr_private_segment_wavefront_offset 0
		.amdhsa_system_sgpr_workgroup_id_x 1
		.amdhsa_system_sgpr_workgroup_id_y 0
		.amdhsa_system_sgpr_workgroup_id_z 0
		.amdhsa_system_sgpr_workgroup_info 0
		.amdhsa_system_vgpr_workitem_id 0
		.amdhsa_next_free_vgpr 192
		.amdhsa_next_free_sgpr 42
		.amdhsa_reserve_vcc 1
		.amdhsa_reserve_flat_scratch 0
		.amdhsa_float_round_mode_32 0
		.amdhsa_float_round_mode_16_64 0
		.amdhsa_float_denorm_mode_32 3
		.amdhsa_float_denorm_mode_16_64 3
		.amdhsa_dx10_clamp 1
		.amdhsa_ieee_mode 1
		.amdhsa_fp16_overflow 0
		.amdhsa_workgroup_processor_mode 1
		.amdhsa_memory_ordered 1
		.amdhsa_forward_progress 0
		.amdhsa_shared_vgpr_count 0
		.amdhsa_exception_fp_ieee_invalid_op 0
		.amdhsa_exception_fp_denorm_src 0
		.amdhsa_exception_fp_ieee_div_zero 0
		.amdhsa_exception_fp_ieee_overflow 0
		.amdhsa_exception_fp_ieee_underflow 0
		.amdhsa_exception_fp_ieee_inexact 0
		.amdhsa_exception_int_div_zero 0
	.end_amdhsa_kernel
	.text
.Lfunc_end0:
	.size	fft_rtc_back_len676_factors_13_13_4_wgs_52_tpt_52_dp_ip_CI_unitstride_sbrr_C2R_dirReg, .Lfunc_end0-fft_rtc_back_len676_factors_13_13_4_wgs_52_tpt_52_dp_ip_CI_unitstride_sbrr_C2R_dirReg
                                        ; -- End function
	.section	.AMDGPU.csdata,"",@progbits
; Kernel info:
; codeLenInByte = 13040
; NumSgprs: 44
; NumVgprs: 192
; ScratchSize: 0
; MemoryBound: 0
; FloatMode: 240
; IeeeMode: 1
; LDSByteSize: 0 bytes/workgroup (compile time only)
; SGPRBlocks: 5
; VGPRBlocks: 23
; NumSGPRsForWavesPerEU: 44
; NumVGPRsForWavesPerEU: 192
; Occupancy: 5
; WaveLimiterHint : 1
; COMPUTE_PGM_RSRC2:SCRATCH_EN: 0
; COMPUTE_PGM_RSRC2:USER_SGPR: 6
; COMPUTE_PGM_RSRC2:TRAP_HANDLER: 0
; COMPUTE_PGM_RSRC2:TGID_X_EN: 1
; COMPUTE_PGM_RSRC2:TGID_Y_EN: 0
; COMPUTE_PGM_RSRC2:TGID_Z_EN: 0
; COMPUTE_PGM_RSRC2:TIDIG_COMP_CNT: 0
	.text
	.p2alignl 6, 3214868480
	.fill 48, 4, 3214868480
	.type	__hip_cuid_38fe134e3eb7976d,@object ; @__hip_cuid_38fe134e3eb7976d
	.section	.bss,"aw",@nobits
	.globl	__hip_cuid_38fe134e3eb7976d
__hip_cuid_38fe134e3eb7976d:
	.byte	0                               ; 0x0
	.size	__hip_cuid_38fe134e3eb7976d, 1

	.ident	"AMD clang version 19.0.0git (https://github.com/RadeonOpenCompute/llvm-project roc-6.4.0 25133 c7fe45cf4b819c5991fe208aaa96edf142730f1d)"
	.section	".note.GNU-stack","",@progbits
	.addrsig
	.addrsig_sym __hip_cuid_38fe134e3eb7976d
	.amdgpu_metadata
---
amdhsa.kernels:
  - .args:
      - .actual_access:  read_only
        .address_space:  global
        .offset:         0
        .size:           8
        .value_kind:     global_buffer
      - .offset:         8
        .size:           8
        .value_kind:     by_value
      - .actual_access:  read_only
        .address_space:  global
        .offset:         16
        .size:           8
        .value_kind:     global_buffer
      - .actual_access:  read_only
        .address_space:  global
        .offset:         24
        .size:           8
        .value_kind:     global_buffer
      - .offset:         32
        .size:           8
        .value_kind:     by_value
      - .actual_access:  read_only
        .address_space:  global
        .offset:         40
        .size:           8
        .value_kind:     global_buffer
      - .actual_access:  read_only
        .address_space:  global
        .offset:         48
        .size:           8
        .value_kind:     global_buffer
      - .offset:         56
        .size:           4
        .value_kind:     by_value
      - .actual_access:  read_only
        .address_space:  global
        .offset:         64
        .size:           8
        .value_kind:     global_buffer
      - .actual_access:  read_only
        .address_space:  global
        .offset:         72
        .size:           8
        .value_kind:     global_buffer
      - .address_space:  global
        .offset:         80
        .size:           8
        .value_kind:     global_buffer
    .group_segment_fixed_size: 0
    .kernarg_segment_align: 8
    .kernarg_segment_size: 88
    .language:       OpenCL C
    .language_version:
      - 2
      - 0
    .max_flat_workgroup_size: 52
    .name:           fft_rtc_back_len676_factors_13_13_4_wgs_52_tpt_52_dp_ip_CI_unitstride_sbrr_C2R_dirReg
    .private_segment_fixed_size: 0
    .sgpr_count:     44
    .sgpr_spill_count: 0
    .symbol:         fft_rtc_back_len676_factors_13_13_4_wgs_52_tpt_52_dp_ip_CI_unitstride_sbrr_C2R_dirReg.kd
    .uniform_work_group_size: 1
    .uses_dynamic_stack: false
    .vgpr_count:     192
    .vgpr_spill_count: 0
    .wavefront_size: 32
    .workgroup_processor_mode: 1
amdhsa.target:   amdgcn-amd-amdhsa--gfx1030
amdhsa.version:
  - 1
  - 2
...

	.end_amdgpu_metadata
